;; amdgpu-corpus repo=ROCm/rocFFT kind=compiled arch=gfx906 opt=O3
	.text
	.amdgcn_target "amdgcn-amd-amdhsa--gfx906"
	.amdhsa_code_object_version 6
	.protected	fft_rtc_fwd_len3125_factors_5_5_5_5_5_wgs_125_tpt_125_halfLds_sp_op_CI_CI_sbrr_dirReg ; -- Begin function fft_rtc_fwd_len3125_factors_5_5_5_5_5_wgs_125_tpt_125_halfLds_sp_op_CI_CI_sbrr_dirReg
	.globl	fft_rtc_fwd_len3125_factors_5_5_5_5_5_wgs_125_tpt_125_halfLds_sp_op_CI_CI_sbrr_dirReg
	.p2align	8
	.type	fft_rtc_fwd_len3125_factors_5_5_5_5_5_wgs_125_tpt_125_halfLds_sp_op_CI_CI_sbrr_dirReg,@function
fft_rtc_fwd_len3125_factors_5_5_5_5_5_wgs_125_tpt_125_halfLds_sp_op_CI_CI_sbrr_dirReg: ; @fft_rtc_fwd_len3125_factors_5_5_5_5_5_wgs_125_tpt_125_halfLds_sp_op_CI_CI_sbrr_dirReg
; %bb.0:
	s_load_dwordx4 s[16:19], s[4:5], 0x18
	s_load_dwordx4 s[12:15], s[4:5], 0x0
	;; [unrolled: 1-line block ×3, first 2 shown]
	v_mul_u32_u24_e32 v1, 0x20d, v0
	v_mov_b32_e32 v5, 0
	s_waitcnt lgkmcnt(0)
	s_load_dwordx2 s[20:21], s[16:17], 0x0
	s_load_dwordx2 s[2:3], s[18:19], 0x0
	v_cmp_lt_u64_e64 s[0:1], s[14:15], 2
	v_mov_b32_e32 v55, 0
	v_add_u32_sdwa v7, s6, v1 dst_sel:DWORD dst_unused:UNUSED_PAD src0_sel:DWORD src1_sel:WORD_1
	v_mov_b32_e32 v8, v5
	s_and_b64 vcc, exec, s[0:1]
	v_mov_b32_e32 v56, 0
	s_cbranch_vccnz .LBB0_8
; %bb.1:
	s_load_dwordx2 s[0:1], s[4:5], 0x10
	s_add_u32 s6, s18, 8
	s_addc_u32 s7, s19, 0
	s_add_u32 s22, s16, 8
	s_addc_u32 s23, s17, 0
	v_mov_b32_e32 v55, 0
	s_waitcnt lgkmcnt(0)
	s_add_u32 s24, s0, 8
	v_mov_b32_e32 v56, 0
	v_mov_b32_e32 v1, v55
	s_addc_u32 s25, s1, 0
	s_mov_b64 s[26:27], 1
	v_mov_b32_e32 v2, v56
.LBB0_2:                                ; =>This Inner Loop Header: Depth=1
	s_load_dwordx2 s[28:29], s[24:25], 0x0
                                        ; implicit-def: $vgpr3_vgpr4
	s_waitcnt lgkmcnt(0)
	v_or_b32_e32 v6, s29, v8
	v_cmp_ne_u64_e32 vcc, 0, v[5:6]
	s_and_saveexec_b64 s[0:1], vcc
	s_xor_b64 s[30:31], exec, s[0:1]
	s_cbranch_execz .LBB0_4
; %bb.3:                                ;   in Loop: Header=BB0_2 Depth=1
	v_cvt_f32_u32_e32 v3, s28
	v_cvt_f32_u32_e32 v4, s29
	s_sub_u32 s0, 0, s28
	s_subb_u32 s1, 0, s29
	v_mac_f32_e32 v3, 0x4f800000, v4
	v_rcp_f32_e32 v3, v3
	v_mul_f32_e32 v3, 0x5f7ffffc, v3
	v_mul_f32_e32 v4, 0x2f800000, v3
	v_trunc_f32_e32 v4, v4
	v_mac_f32_e32 v3, 0xcf800000, v4
	v_cvt_u32_f32_e32 v4, v4
	v_cvt_u32_f32_e32 v3, v3
	v_mul_lo_u32 v6, s0, v4
	v_mul_hi_u32 v9, s0, v3
	v_mul_lo_u32 v11, s1, v3
	v_mul_lo_u32 v10, s0, v3
	v_add_u32_e32 v6, v9, v6
	v_add_u32_e32 v6, v6, v11
	v_mul_hi_u32 v9, v3, v10
	v_mul_lo_u32 v11, v3, v6
	v_mul_hi_u32 v13, v3, v6
	v_mul_hi_u32 v12, v4, v10
	v_mul_lo_u32 v10, v4, v10
	v_mul_hi_u32 v14, v4, v6
	v_add_co_u32_e32 v9, vcc, v9, v11
	v_addc_co_u32_e32 v11, vcc, 0, v13, vcc
	v_mul_lo_u32 v6, v4, v6
	v_add_co_u32_e32 v9, vcc, v9, v10
	v_addc_co_u32_e32 v9, vcc, v11, v12, vcc
	v_addc_co_u32_e32 v10, vcc, 0, v14, vcc
	v_add_co_u32_e32 v6, vcc, v9, v6
	v_addc_co_u32_e32 v9, vcc, 0, v10, vcc
	v_add_co_u32_e32 v3, vcc, v3, v6
	v_addc_co_u32_e32 v4, vcc, v4, v9, vcc
	v_mul_lo_u32 v6, s0, v4
	v_mul_hi_u32 v9, s0, v3
	v_mul_lo_u32 v10, s1, v3
	v_mul_lo_u32 v11, s0, v3
	v_add_u32_e32 v6, v9, v6
	v_add_u32_e32 v6, v6, v10
	v_mul_lo_u32 v12, v3, v6
	v_mul_hi_u32 v13, v3, v11
	v_mul_hi_u32 v14, v3, v6
	;; [unrolled: 1-line block ×3, first 2 shown]
	v_mul_lo_u32 v11, v4, v11
	v_mul_hi_u32 v9, v4, v6
	v_add_co_u32_e32 v12, vcc, v13, v12
	v_addc_co_u32_e32 v13, vcc, 0, v14, vcc
	v_mul_lo_u32 v6, v4, v6
	v_add_co_u32_e32 v11, vcc, v12, v11
	v_addc_co_u32_e32 v10, vcc, v13, v10, vcc
	v_addc_co_u32_e32 v9, vcc, 0, v9, vcc
	v_add_co_u32_e32 v6, vcc, v10, v6
	v_addc_co_u32_e32 v9, vcc, 0, v9, vcc
	v_add_co_u32_e32 v6, vcc, v3, v6
	v_addc_co_u32_e32 v9, vcc, v4, v9, vcc
	v_mad_u64_u32 v[3:4], s[0:1], v7, v9, 0
	v_mul_hi_u32 v10, v7, v6
	v_add_co_u32_e32 v11, vcc, v10, v3
	v_addc_co_u32_e32 v12, vcc, 0, v4, vcc
	v_mad_u64_u32 v[3:4], s[0:1], v8, v6, 0
	v_mad_u64_u32 v[9:10], s[0:1], v8, v9, 0
	v_add_co_u32_e32 v3, vcc, v11, v3
	v_addc_co_u32_e32 v3, vcc, v12, v4, vcc
	v_addc_co_u32_e32 v4, vcc, 0, v10, vcc
	v_add_co_u32_e32 v6, vcc, v3, v9
	v_addc_co_u32_e32 v9, vcc, 0, v4, vcc
	v_mul_lo_u32 v10, s29, v6
	v_mul_lo_u32 v11, s28, v9
	v_mad_u64_u32 v[3:4], s[0:1], s28, v6, 0
	v_add3_u32 v4, v4, v11, v10
	v_sub_u32_e32 v10, v8, v4
	v_mov_b32_e32 v11, s29
	v_sub_co_u32_e32 v3, vcc, v7, v3
	v_subb_co_u32_e64 v10, s[0:1], v10, v11, vcc
	v_subrev_co_u32_e64 v11, s[0:1], s28, v3
	v_subbrev_co_u32_e64 v10, s[0:1], 0, v10, s[0:1]
	v_cmp_le_u32_e64 s[0:1], s29, v10
	v_cndmask_b32_e64 v12, 0, -1, s[0:1]
	v_cmp_le_u32_e64 s[0:1], s28, v11
	v_cndmask_b32_e64 v11, 0, -1, s[0:1]
	v_cmp_eq_u32_e64 s[0:1], s29, v10
	v_cndmask_b32_e64 v10, v12, v11, s[0:1]
	v_add_co_u32_e64 v11, s[0:1], 2, v6
	v_addc_co_u32_e64 v12, s[0:1], 0, v9, s[0:1]
	v_add_co_u32_e64 v13, s[0:1], 1, v6
	v_addc_co_u32_e64 v14, s[0:1], 0, v9, s[0:1]
	v_subb_co_u32_e32 v4, vcc, v8, v4, vcc
	v_cmp_ne_u32_e64 s[0:1], 0, v10
	v_cmp_le_u32_e32 vcc, s29, v4
	v_cndmask_b32_e64 v10, v14, v12, s[0:1]
	v_cndmask_b32_e64 v12, 0, -1, vcc
	v_cmp_le_u32_e32 vcc, s28, v3
	v_cndmask_b32_e64 v3, 0, -1, vcc
	v_cmp_eq_u32_e32 vcc, s29, v4
	v_cndmask_b32_e32 v3, v12, v3, vcc
	v_cmp_ne_u32_e32 vcc, 0, v3
	v_cndmask_b32_e64 v3, v13, v11, s[0:1]
	v_cndmask_b32_e32 v4, v9, v10, vcc
	v_cndmask_b32_e32 v3, v6, v3, vcc
.LBB0_4:                                ;   in Loop: Header=BB0_2 Depth=1
	s_andn2_saveexec_b64 s[0:1], s[30:31]
	s_cbranch_execz .LBB0_6
; %bb.5:                                ;   in Loop: Header=BB0_2 Depth=1
	v_cvt_f32_u32_e32 v3, s28
	s_sub_i32 s30, 0, s28
	v_rcp_iflag_f32_e32 v3, v3
	v_mul_f32_e32 v3, 0x4f7ffffe, v3
	v_cvt_u32_f32_e32 v3, v3
	v_mul_lo_u32 v4, s30, v3
	v_mul_hi_u32 v4, v3, v4
	v_add_u32_e32 v3, v3, v4
	v_mul_hi_u32 v3, v7, v3
	v_mul_lo_u32 v4, v3, s28
	v_add_u32_e32 v6, 1, v3
	v_sub_u32_e32 v4, v7, v4
	v_subrev_u32_e32 v9, s28, v4
	v_cmp_le_u32_e32 vcc, s28, v4
	v_cndmask_b32_e32 v4, v4, v9, vcc
	v_cndmask_b32_e32 v3, v3, v6, vcc
	v_add_u32_e32 v6, 1, v3
	v_cmp_le_u32_e32 vcc, s28, v4
	v_cndmask_b32_e32 v3, v3, v6, vcc
	v_mov_b32_e32 v4, v5
.LBB0_6:                                ;   in Loop: Header=BB0_2 Depth=1
	s_or_b64 exec, exec, s[0:1]
	v_mul_lo_u32 v6, v4, s28
	v_mul_lo_u32 v11, v3, s29
	v_mad_u64_u32 v[9:10], s[0:1], v3, s28, 0
	s_load_dwordx2 s[0:1], s[22:23], 0x0
	s_load_dwordx2 s[28:29], s[6:7], 0x0
	v_add3_u32 v6, v10, v11, v6
	v_sub_co_u32_e32 v7, vcc, v7, v9
	v_subb_co_u32_e32 v6, vcc, v8, v6, vcc
	s_waitcnt lgkmcnt(0)
	v_mul_lo_u32 v8, s0, v6
	v_mul_lo_u32 v9, s1, v7
	v_mad_u64_u32 v[55:56], s[0:1], s0, v7, v[55:56]
	v_mul_lo_u32 v6, s28, v6
	v_mul_lo_u32 v10, s29, v7
	v_mad_u64_u32 v[1:2], s[0:1], s28, v7, v[1:2]
	s_add_u32 s26, s26, 1
	s_addc_u32 s27, s27, 0
	s_add_u32 s6, s6, 8
	v_add3_u32 v2, v10, v2, v6
	s_addc_u32 s7, s7, 0
	v_mov_b32_e32 v6, s14
	s_add_u32 s22, s22, 8
	v_mov_b32_e32 v7, s15
	s_addc_u32 s23, s23, 0
	v_cmp_ge_u64_e32 vcc, s[26:27], v[6:7]
	s_add_u32 s24, s24, 8
	v_add3_u32 v56, v9, v56, v8
	s_addc_u32 s25, s25, 0
	s_cbranch_vccnz .LBB0_9
; %bb.7:                                ;   in Loop: Header=BB0_2 Depth=1
	v_mov_b32_e32 v8, v4
	v_mov_b32_e32 v7, v3
	s_branch .LBB0_2
.LBB0_8:
	v_mov_b32_e32 v1, v55
	v_mov_b32_e32 v3, v7
	;; [unrolled: 1-line block ×4, first 2 shown]
.LBB0_9:
	s_load_dwordx2 s[0:1], s[4:5], 0x28
	s_lshl_b64 s[14:15], s[14:15], 3
	s_add_u32 s4, s18, s14
	s_addc_u32 s5, s19, s15
                                        ; implicit-def: $vgpr57
                                        ; implicit-def: $vgpr58
                                        ; implicit-def: $vgpr59
                                        ; implicit-def: $vgpr60
                                        ; implicit-def: $vgpr61
	s_waitcnt lgkmcnt(0)
	v_cmp_gt_u64_e32 vcc, s[0:1], v[3:4]
	v_cmp_le_u64_e64 s[0:1], s[0:1], v[3:4]
	s_and_saveexec_b64 s[6:7], s[0:1]
	s_xor_b64 s[0:1], exec, s[6:7]
; %bb.10:
	s_mov_b32 s6, 0x20c49bb
	v_mul_hi_u32 v5, v0, s6
                                        ; implicit-def: $vgpr55_vgpr56
	v_mul_u32_u24_e32 v5, 0x7d, v5
	v_sub_u32_e32 v57, v0, v5
	v_add_u32_e32 v58, 0x7d, v57
	v_add_u32_e32 v59, 0xfa, v57
	;; [unrolled: 1-line block ×4, first 2 shown]
                                        ; implicit-def: $vgpr0
; %bb.11:
	s_or_saveexec_b64 s[6:7], s[0:1]
                                        ; implicit-def: $vgpr10
                                        ; implicit-def: $vgpr8
                                        ; implicit-def: $vgpr14
                                        ; implicit-def: $vgpr12
                                        ; implicit-def: $vgpr6
                                        ; implicit-def: $vgpr16
                                        ; implicit-def: $vgpr18
                                        ; implicit-def: $vgpr20
                                        ; implicit-def: $vgpr22
                                        ; implicit-def: $vgpr24
                                        ; implicit-def: $vgpr26
                                        ; implicit-def: $vgpr28
                                        ; implicit-def: $vgpr30
                                        ; implicit-def: $vgpr32
                                        ; implicit-def: $vgpr34
                                        ; implicit-def: $vgpr36
                                        ; implicit-def: $vgpr38
                                        ; implicit-def: $vgpr40
                                        ; implicit-def: $vgpr42
                                        ; implicit-def: $vgpr44
                                        ; implicit-def: $vgpr46
                                        ; implicit-def: $vgpr48
                                        ; implicit-def: $vgpr50
                                        ; implicit-def: $vgpr52
                                        ; implicit-def: $vgpr54
	s_xor_b64 exec, exec, s[6:7]
	s_cbranch_execz .LBB0_13
; %bb.12:
	s_add_u32 s0, s16, s14
	s_mov_b32 s14, 0x20c49bb
	v_mul_hi_u32 v5, v0, s14
	s_addc_u32 s1, s17, s15
	s_load_dwordx2 s[0:1], s[0:1], 0x0
	v_mul_u32_u24_e32 v5, 0x7d, v5
	v_sub_u32_e32 v57, v0, v5
	v_mad_u64_u32 v[5:6], s[14:15], s20, v57, 0
	s_waitcnt lgkmcnt(0)
	v_mul_lo_u32 v11, s1, v3
	v_mul_lo_u32 v12, s0, v4
	v_mad_u64_u32 v[7:8], s[0:1], s0, v3, 0
	v_mov_b32_e32 v0, v6
	v_mad_u64_u32 v[9:10], s[0:1], s21, v57, v[0:1]
	v_add3_u32 v8, v8, v12, v11
	v_lshlrev_b64 v[7:8], 3, v[7:8]
	v_mov_b32_e32 v0, s9
	v_add_co_u32_e64 v11, s[0:1], s8, v7
	v_add_u32_e32 v12, 0x271, v57
	v_mov_b32_e32 v6, v9
	v_addc_co_u32_e64 v0, s[0:1], v0, v8, s[0:1]
	v_mad_u64_u32 v[9:10], s[0:1], s20, v12, 0
	v_lshlrev_b64 v[7:8], 3, v[55:56]
	v_add_u32_e32 v13, 0x4e2, v57
	v_add_co_u32_e64 v33, s[0:1], v11, v7
	v_addc_co_u32_e64 v34, s[0:1], v0, v8, s[0:1]
	v_mov_b32_e32 v0, v10
	v_mad_u64_u32 v[7:8], s[0:1], s21, v12, v[0:1]
	v_mad_u64_u32 v[11:12], s[0:1], s20, v13, 0
	v_lshlrev_b64 v[5:6], 3, v[5:6]
	v_mov_b32_e32 v10, v7
	v_add_co_u32_e64 v5, s[0:1], v33, v5
	v_mov_b32_e32 v0, v12
	v_add_u32_e32 v15, 0x753, v57
	v_addc_co_u32_e64 v6, s[0:1], v34, v6, s[0:1]
	v_lshlrev_b64 v[7:8], 3, v[9:10]
	v_mad_u64_u32 v[9:10], s[0:1], s21, v13, v[0:1]
	v_mad_u64_u32 v[13:14], s[0:1], s20, v15, 0
	v_add_co_u32_e64 v7, s[0:1], v33, v7
	v_mov_b32_e32 v12, v9
	v_mov_b32_e32 v0, v14
	v_add_u32_e32 v17, 0x9c4, v57
	v_addc_co_u32_e64 v8, s[0:1], v34, v8, s[0:1]
	v_lshlrev_b64 v[9:10], 3, v[11:12]
	v_mad_u64_u32 v[11:12], s[0:1], s21, v15, v[0:1]
	v_mad_u64_u32 v[15:16], s[0:1], s20, v17, 0
	v_add_co_u32_e64 v9, s[0:1], v33, v9
	v_mov_b32_e32 v14, v11
	;; [unrolled: 8-line block ×9, first 2 shown]
	v_mov_b32_e32 v0, v30
	v_addc_co_u32_e64 v24, s[0:1], v34, v24, s[0:1]
	v_lshlrev_b64 v[25:26], 3, v[27:28]
	v_mad_u64_u32 v[27:28], s[0:1], s21, v31, v[0:1]
	v_add_u32_e32 v28, 0x5dc, v57
	v_mad_u64_u32 v[31:32], s[0:1], s20, v28, 0
	v_add_co_u32_e64 v55, s[0:1], v33, v25
	v_mov_b32_e32 v30, v27
	v_mov_b32_e32 v0, v32
	v_addc_co_u32_e64 v56, s[0:1], v34, v26, s[0:1]
	v_lshlrev_b64 v[25:26], 3, v[29:30]
	v_mad_u64_u32 v[27:28], s[0:1], s21, v28, v[0:1]
	v_add_u32_e32 v30, 0x84d, v57
	v_mad_u64_u32 v[28:29], s[0:1], s20, v30, 0
	v_add_co_u32_e64 v62, s[0:1], v33, v25
	v_mov_b32_e32 v0, v29
	v_addc_co_u32_e64 v63, s[0:1], v34, v26, s[0:1]
	v_mov_b32_e32 v32, v27
	v_mad_u64_u32 v[29:30], s[0:1], s21, v30, v[0:1]
	v_add_u32_e32 v27, 0xabe, v57
	v_lshlrev_b64 v[25:26], 3, v[31:32]
	v_mad_u64_u32 v[30:31], s[0:1], s20, v27, 0
	v_add_co_u32_e64 v64, s[0:1], v33, v25
	v_mov_b32_e32 v0, v31
	v_addc_co_u32_e64 v65, s[0:1], v34, v26, s[0:1]
	v_lshlrev_b64 v[25:26], 3, v[28:29]
	v_mad_u64_u32 v[27:28], s[0:1], s21, v27, v[0:1]
	v_add_u32_e32 v60, 0x177, v57
	v_mad_u64_u32 v[28:29], s[0:1], s20, v60, 0
	v_add_co_u32_e64 v66, s[0:1], v33, v25
	v_mov_b32_e32 v31, v27
	v_mov_b32_e32 v0, v29
	v_addc_co_u32_e64 v67, s[0:1], v34, v26, s[0:1]
	v_lshlrev_b64 v[25:26], 3, v[30:31]
	v_mad_u64_u32 v[29:30], s[0:1], s21, v60, v[0:1]
	v_add_u32_e32 v27, 0x3e8, v57
	v_mad_u64_u32 v[30:31], s[0:1], s20, v27, 0
	v_add_co_u32_e64 v68, s[0:1], v33, v25
	v_mov_b32_e32 v0, v31
	v_addc_co_u32_e64 v69, s[0:1], v34, v26, s[0:1]
	v_lshlrev_b64 v[25:26], 3, v[28:29]
	v_mad_u64_u32 v[27:28], s[0:1], s21, v27, v[0:1]
	v_add_u32_e32 v32, 0x659, v57
	v_mad_u64_u32 v[28:29], s[0:1], s20, v32, 0
	v_add_co_u32_e64 v70, s[0:1], v33, v25
	v_mov_b32_e32 v31, v27
	v_mov_b32_e32 v0, v29
	v_addc_co_u32_e64 v71, s[0:1], v34, v26, s[0:1]
	v_lshlrev_b64 v[25:26], 3, v[30:31]
	v_mad_u64_u32 v[29:30], s[0:1], s21, v32, v[0:1]
	v_add_u32_e32 v27, 0x8ca, v57
	;; [unrolled: 15-line block ×5, first 2 shown]
	v_mad_u64_u32 v[30:31], s[0:1], s20, v27, 0
	v_add_co_u32_e64 v84, s[0:1], v33, v25
	v_mov_b32_e32 v0, v31
	v_addc_co_u32_e64 v85, s[0:1], v34, v26, s[0:1]
	v_lshlrev_b64 v[25:26], 3, v[28:29]
	v_mad_u64_u32 v[27:28], s[0:1], s21, v27, v[0:1]
	v_add_co_u32_e64 v86, s[0:1], v33, v25
	v_mov_b32_e32 v31, v27
	v_addc_co_u32_e64 v87, s[0:1], v34, v26, s[0:1]
	v_lshlrev_b64 v[25:26], 3, v[30:31]
	v_add_co_u32_e64 v88, s[0:1], v33, v25
	v_addc_co_u32_e64 v89, s[0:1], v34, v26, s[0:1]
	global_load_dwordx2 v[53:54], v[5:6], off
	global_load_dwordx2 v[51:52], v[7:8], off
	global_load_dwordx2 v[49:50], v[9:10], off
	global_load_dwordx2 v[47:48], v[11:12], off
	global_load_dwordx2 v[45:46], v[13:14], off
	global_load_dwordx2 v[43:44], v[15:16], off
	global_load_dwordx2 v[41:42], v[17:18], off
	global_load_dwordx2 v[39:40], v[19:20], off
	global_load_dwordx2 v[37:38], v[21:22], off
	global_load_dwordx2 v[35:36], v[23:24], off
	global_load_dwordx2 v[33:34], v[55:56], off
	global_load_dwordx2 v[31:32], v[62:63], off
	global_load_dwordx2 v[29:30], v[64:65], off
	global_load_dwordx2 v[27:28], v[66:67], off
	global_load_dwordx2 v[25:26], v[68:69], off
                                        ; kill: killed $vgpr68 killed $vgpr69
                                        ; kill: killed $vgpr15 killed $vgpr16
                                        ; kill: killed $vgpr9 killed $vgpr10
                                        ; kill: killed $vgpr62 killed $vgpr63
                                        ; kill: killed $vgpr19 killed $vgpr20
                                        ; kill: killed $vgpr13 killed $vgpr14
                                        ; kill: killed $vgpr66 killed $vgpr67
                                        ; kill: killed $vgpr23 killed $vgpr24
                                        ; kill: killed $vgpr7 killed $vgpr8
                                        ; kill: killed $vgpr55 killed $vgpr56
                                        ; kill: killed $vgpr17 killed $vgpr18
                                        ; kill: killed $vgpr11 killed $vgpr12
                                        ; kill: killed $vgpr64 killed $vgpr65
                                        ; kill: killed $vgpr21 killed $vgpr22
                                        ; kill: killed $vgpr5 killed $vgpr6
	global_load_dwordx2 v[23:24], v[70:71], off
	global_load_dwordx2 v[21:22], v[72:73], off
	global_load_dwordx2 v[19:20], v[74:75], off
	global_load_dwordx2 v[17:18], v[76:77], off
	global_load_dwordx2 v[15:16], v[78:79], off
	global_load_dwordx2 v[5:6], v[80:81], off
	global_load_dwordx2 v[11:12], v[82:83], off
	global_load_dwordx2 v[13:14], v[84:85], off
	global_load_dwordx2 v[7:8], v[86:87], off
	global_load_dwordx2 v[9:10], v[88:89], off
.LBB0_13:
	s_or_b64 exec, exec, s[6:7]
	s_waitcnt vmcnt(21)
	v_add_f32_e32 v0, v47, v49
	v_fma_f32 v0, -0.5, v0, v53
	s_waitcnt vmcnt(20)
	v_sub_f32_e32 v55, v52, v46
	v_mov_b32_e32 v56, v0
	v_sub_f32_e32 v62, v51, v49
	v_sub_f32_e32 v63, v45, v47
	v_fmac_f32_e32 v56, 0x3f737871, v55
	v_add_f32_e32 v62, v63, v62
	v_sub_f32_e32 v63, v50, v48
	v_fmac_f32_e32 v0, 0xbf737871, v55
	v_fmac_f32_e32 v56, 0x3f167918, v63
	;; [unrolled: 1-line block ×3, first 2 shown]
	v_add_f32_e32 v64, v45, v51
	v_fmac_f32_e32 v56, 0x3e9e377a, v62
	v_fmac_f32_e32 v0, 0x3e9e377a, v62
	v_add_f32_e32 v62, v51, v53
	v_fmac_f32_e32 v53, -0.5, v64
	v_sub_f32_e32 v64, v49, v51
	v_sub_f32_e32 v65, v47, v45
	v_add_f32_e32 v64, v65, v64
	v_mov_b32_e32 v65, v53
	v_fmac_f32_e32 v65, 0xbf737871, v63
	v_fmac_f32_e32 v53, 0x3f737871, v63
	;; [unrolled: 1-line block ×4, first 2 shown]
	v_add_f32_e32 v55, v49, v62
	v_add_f32_e32 v55, v47, v55
	v_fmac_f32_e32 v65, 0x3e9e377a, v64
	v_fmac_f32_e32 v53, 0x3e9e377a, v64
	v_mad_u32_u24 v79, v57, 20, 0
	v_add_f32_e32 v55, v45, v55
	ds_write2_b32 v79, v65, v53 offset0:2 offset1:3
	s_waitcnt vmcnt(16)
	v_add_f32_e32 v53, v37, v39
	ds_write2_b32 v79, v55, v56 offset1:1
	v_sub_f32_e32 v55, v41, v39
	s_waitcnt vmcnt(15)
	v_sub_f32_e32 v56, v35, v37
	v_fma_f32 v53, -0.5, v53, v43
	v_add_f32_e32 v55, v56, v55
	v_add_f32_e32 v56, v41, v43
	v_sub_f32_e32 v62, v42, v36
	v_mov_b32_e32 v63, v53
	v_add_f32_e32 v56, v39, v56
	v_fmac_f32_e32 v63, 0x3f737871, v62
	v_sub_f32_e32 v64, v40, v38
	v_fmac_f32_e32 v53, 0xbf737871, v62
	v_add_f32_e32 v56, v37, v56
	v_fmac_f32_e32 v63, 0x3f167918, v64
	v_fmac_f32_e32 v53, 0xbf167918, v64
	v_add_f32_e32 v56, v35, v56
	ds_write_b32 v79, v0 offset:16
	v_fmac_f32_e32 v63, 0x3e9e377a, v55
	v_mad_i32_i24 v0, v58, 20, 0
	v_fmac_f32_e32 v53, 0x3e9e377a, v55
	v_add_f32_e32 v55, v35, v41
	ds_write2_b32 v0, v56, v63 offset1:1
	v_fmac_f32_e32 v43, -0.5, v55
	v_sub_f32_e32 v55, v39, v41
	v_sub_f32_e32 v56, v37, v35
	v_add_f32_e32 v55, v56, v55
	v_mov_b32_e32 v56, v43
	v_fmac_f32_e32 v56, 0xbf737871, v64
	v_fmac_f32_e32 v43, 0x3f737871, v64
	;; [unrolled: 1-line block ×4, first 2 shown]
	ds_write_b32 v0, v53 offset:16
	s_waitcnt vmcnt(11)
	v_add_f32_e32 v53, v27, v29
	v_fmac_f32_e32 v56, 0x3e9e377a, v55
	v_fmac_f32_e32 v43, 0x3e9e377a, v55
	v_fma_f32 v53, -0.5, v53, v33
	ds_write2_b32 v0, v56, v43 offset0:2 offset1:3
	v_add_f32_e32 v43, v31, v33
	s_waitcnt vmcnt(10)
	v_sub_f32_e32 v56, v32, v26
	v_mov_b32_e32 v63, v53
	v_sub_f32_e32 v55, v31, v29
	v_sub_f32_e32 v62, v25, v27
	v_add_f32_e32 v43, v29, v43
	v_fmac_f32_e32 v63, 0x3f737871, v56
	v_sub_f32_e32 v64, v30, v28
	v_add_f32_e32 v62, v62, v55
	v_add_f32_e32 v43, v27, v43
	v_fmac_f32_e32 v63, 0x3f167918, v64
	v_add_f32_e32 v43, v25, v43
	v_fmac_f32_e32 v63, 0x3e9e377a, v62
	v_mad_i32_i24 v55, v59, 20, 0
	v_fmac_f32_e32 v53, 0xbf737871, v56
	ds_write2_b32 v55, v43, v63 offset1:1
	v_fmac_f32_e32 v53, 0xbf167918, v64
	v_add_f32_e32 v43, v25, v31
	v_fmac_f32_e32 v53, 0x3e9e377a, v62
	v_fmac_f32_e32 v33, -0.5, v43
	v_sub_f32_e32 v43, v29, v31
	v_sub_f32_e32 v62, v27, v25
	v_add_f32_e32 v43, v62, v43
	v_mov_b32_e32 v62, v33
	v_fmac_f32_e32 v62, 0xbf737871, v64
	v_fmac_f32_e32 v33, 0x3f737871, v64
	;; [unrolled: 1-line block ×6, first 2 shown]
	ds_write2_b32 v55, v62, v33 offset0:2 offset1:3
	ds_write_b32 v55, v53 offset:16
	s_waitcnt vmcnt(8)
	v_add_f32_e32 v33, v21, v23
	s_waitcnt vmcnt(7)
	v_add_f32_e32 v33, v19, v33
	;; [unrolled: 2-line block ×3, first 2 shown]
	v_sub_f32_e32 v43, v21, v19
	s_waitcnt vmcnt(5)
	v_sub_f32_e32 v56, v15, v17
	v_add_f32_e32 v53, v15, v33
	v_add_f32_e32 v33, v17, v19
	v_add_f32_e32 v43, v56, v43
	v_fma_f32 v56, -0.5, v33, v23
	v_sub_f32_e32 v62, v22, v16
	v_mov_b32_e32 v63, v56
	v_fmac_f32_e32 v63, 0x3f737871, v62
	v_sub_f32_e32 v64, v20, v18
	v_fmac_f32_e32 v56, 0xbf737871, v62
	v_fmac_f32_e32 v63, 0x3f167918, v64
	;; [unrolled: 1-line block ×4, first 2 shown]
	v_mad_i32_i24 v33, v60, 20, 0
	v_fmac_f32_e32 v56, 0x3e9e377a, v43
	v_add_f32_e32 v43, v15, v21
	ds_write2_b32 v33, v53, v63 offset1:1
	v_fmac_f32_e32 v23, -0.5, v43
	v_sub_f32_e32 v43, v19, v21
	v_sub_f32_e32 v53, v17, v15
	v_add_f32_e32 v43, v53, v43
	v_mov_b32_e32 v53, v23
	v_fmac_f32_e32 v53, 0xbf737871, v64
	v_fmac_f32_e32 v23, 0x3f737871, v64
	;; [unrolled: 1-line block ×6, first 2 shown]
	ds_write2_b32 v33, v53, v23 offset0:2 offset1:3
	ds_write_b32 v33, v56 offset:16
	s_waitcnt vmcnt(1)
	v_add_f32_e32 v53, v7, v13
	v_sub_f32_e32 v43, v11, v13
	s_waitcnt vmcnt(0)
	v_sub_f32_e32 v62, v9, v7
	v_fma_f32 v53, -0.5, v53, v5
	v_add_f32_e32 v43, v62, v43
	v_add_f32_e32 v23, v11, v5
	v_sub_f32_e32 v56, v12, v10
	v_mov_b32_e32 v62, v53
	v_add_f32_e32 v23, v13, v23
	v_fmac_f32_e32 v62, 0x3f737871, v56
	v_sub_f32_e32 v63, v14, v8
	v_add_f32_e32 v23, v7, v23
	v_fmac_f32_e32 v62, 0x3f167918, v63
	v_add_f32_e32 v23, v9, v23
	v_fmac_f32_e32 v62, 0x3e9e377a, v43
	v_mad_i32_i24 v65, v61, 20, 0
	ds_write2_b32 v65, v23, v62 offset1:1
	v_add_f32_e32 v23, v48, v50
	v_fma_f32 v80, -0.5, v23, v54
	v_add_f32_e32 v23, v46, v52
	v_add_f32_e32 v83, v52, v54
	v_fmac_f32_e32 v54, -0.5, v23
	v_sub_f32_e32 v84, v49, v47
	v_mov_b32_e32 v85, v54
	v_sub_f32_e32 v23, v50, v52
	v_sub_f32_e32 v62, v48, v46
	v_fmac_f32_e32 v85, 0x3f737871, v84
	v_sub_f32_e32 v86, v51, v45
	v_fmac_f32_e32 v54, 0xbf737871, v84
	v_add_f32_e32 v23, v62, v23
	v_fmac_f32_e32 v85, 0xbf167918, v86
	v_fmac_f32_e32 v54, 0x3f167918, v86
	;; [unrolled: 1-line block ×6, first 2 shown]
	v_add_f32_e32 v23, v9, v11
	v_fmac_f32_e32 v53, 0x3e9e377a, v43
	v_fmac_f32_e32 v5, -0.5, v23
	v_sub_f32_e32 v23, v13, v11
	v_sub_f32_e32 v43, v7, v9
	v_add_f32_e32 v23, v43, v23
	v_mov_b32_e32 v43, v5
	v_fmac_f32_e32 v43, 0xbf737871, v63
	v_fmac_f32_e32 v5, 0x3f737871, v63
	;; [unrolled: 1-line block ×6, first 2 shown]
	ds_write2_b32 v65, v43, v5 offset0:2 offset1:3
	ds_write_b32 v65, v53 offset:16
	v_lshlrev_b32_e32 v5, 4, v57
	v_sub_u32_e32 v53, v79, v5
	v_sub_f32_e32 v5, v52, v50
	v_add_f32_e32 v50, v50, v83
	v_add_f32_e32 v50, v48, v50
	v_sub_f32_e32 v48, v46, v48
	v_add_f32_e32 v5, v48, v5
	v_mov_b32_e32 v48, v80
	v_fmac_f32_e32 v48, 0xbf737871, v86
	v_fmac_f32_e32 v48, 0xbf167918, v84
	;; [unrolled: 1-line block ×3, first 2 shown]
	v_lshlrev_b32_e32 v68, 4, v58
	v_lshlrev_b32_e32 v69, 4, v59
	;; [unrolled: 1-line block ×4, first 2 shown]
	v_add_f32_e32 v46, v46, v50
	v_fmac_f32_e32 v48, 0x3e9e377a, v5
	v_fmac_f32_e32 v80, 0x3f167918, v84
	s_load_dwordx2 s[4:5], s[4:5], 0x0
	s_waitcnt lgkmcnt(0)
	s_barrier
	v_add_u32_e32 v62, 0x800, v53
	v_add_u32_e32 v66, 0x1000, v53
	;; [unrolled: 1-line block ×4, first 2 shown]
	v_sub_u32_e32 v23, v0, v68
	v_add_u32_e32 v51, 0x1400, v53
	v_add_u32_e32 v49, 0x2800, v53
	v_sub_u32_e32 v45, v55, v69
	v_add_u32_e32 v64, 0xc00, v53
	v_add_u32_e32 v63, 0x2000, v53
	;; [unrolled: 3-line block ×3, first 2 shown]
	v_sub_u32_e32 v73, v65, v72
	ds_read_b32 v78, v53
	ds_read_b32 v77, v23
	;; [unrolled: 1-line block ×5, first 2 shown]
	ds_read2_b32 v[81:82], v62 offset0:113 offset1:238
	ds_read2_b32 v[118:119], v66 offset0:101 offset1:226
	ds_read2_b32 v[120:121], v56 offset0:83 offset1:208
	ds_read2_b32 v[122:123], v43 offset0:71 offset1:196
	ds_read2_b32 v[124:125], v51 offset0:95 offset1:220
	ds_read2_b32 v[126:127], v49 offset0:65 offset1:190
	ds_read2_b32 v[128:129], v64 offset0:107 offset1:232
	ds_read2_b32 v[130:131], v63 offset0:77 offset1:202
	ds_read2_b32 v[132:133], v70 offset0:89 offset1:214
	ds_read2_b32 v[134:135], v67 offset0:59 offset1:184
	s_waitcnt lgkmcnt(0)
	s_barrier
	ds_write2_b32 v79, v46, v48 offset1:1
	v_fmac_f32_e32 v80, 0x3e9e377a, v5
	v_add_f32_e32 v5, v38, v40
	v_add_f32_e32 v48, v36, v42
	v_fma_f32 v5, -0.5, v5, v44
	v_add_f32_e32 v46, v42, v44
	v_fmac_f32_e32 v44, -0.5, v48
	v_sub_f32_e32 v37, v39, v37
	v_mov_b32_e32 v39, v44
	v_sub_f32_e32 v48, v40, v42
	v_sub_f32_e32 v50, v38, v36
	v_fmac_f32_e32 v39, 0x3f737871, v37
	v_sub_f32_e32 v35, v41, v35
	v_fmac_f32_e32 v44, 0xbf737871, v37
	v_add_f32_e32 v48, v50, v48
	v_fmac_f32_e32 v39, 0xbf167918, v35
	v_fmac_f32_e32 v44, 0x3f167918, v35
	;; [unrolled: 1-line block ×4, first 2 shown]
	ds_write2_b32 v79, v85, v54 offset0:2 offset1:3
	ds_write_b32 v79, v80 offset:16
	ds_write2_b32 v0, v39, v44 offset0:2 offset1:3
	v_sub_f32_e32 v39, v42, v40
	v_add_f32_e32 v40, v40, v46
	v_add_f32_e32 v40, v38, v40
	v_sub_f32_e32 v38, v36, v38
	v_add_f32_e32 v38, v38, v39
	v_mov_b32_e32 v39, v5
	v_fmac_f32_e32 v39, 0xbf737871, v35
	v_fmac_f32_e32 v39, 0xbf167918, v37
	;; [unrolled: 1-line block ×3, first 2 shown]
	v_add_f32_e32 v36, v36, v40
	v_fmac_f32_e32 v39, 0x3e9e377a, v38
	v_fmac_f32_e32 v5, 0x3f167918, v37
	v_add_f32_e32 v35, v28, v30
	v_add_f32_e32 v37, v26, v32
	ds_write2_b32 v0, v36, v39 offset1:1
	v_fma_f32 v35, -0.5, v35, v34
	v_add_f32_e32 v36, v32, v34
	v_fmac_f32_e32 v34, -0.5, v37
	v_sub_f32_e32 v27, v29, v27
	v_mov_b32_e32 v29, v34
	v_fmac_f32_e32 v5, 0x3e9e377a, v38
	v_sub_f32_e32 v37, v30, v32
	v_sub_f32_e32 v38, v28, v26
	v_fmac_f32_e32 v29, 0x3f737871, v27
	v_sub_f32_e32 v25, v31, v25
	v_add_f32_e32 v37, v38, v37
	v_fmac_f32_e32 v29, 0xbf167918, v25
	v_fmac_f32_e32 v34, 0xbf737871, v27
	;; [unrolled: 1-line block ×5, first 2 shown]
	ds_write_b32 v0, v5 offset:16
	ds_write2_b32 v55, v29, v34 offset0:2 offset1:3
	v_add_f32_e32 v29, v30, v36
	v_sub_f32_e32 v5, v32, v30
	v_add_f32_e32 v29, v28, v29
	v_sub_f32_e32 v28, v26, v28
	v_add_f32_e32 v5, v28, v5
	v_mov_b32_e32 v28, v35
	v_fmac_f32_e32 v28, 0xbf737871, v25
	v_fmac_f32_e32 v28, 0xbf167918, v27
	;; [unrolled: 1-line block ×3, first 2 shown]
	v_add_f32_e32 v26, v26, v29
	v_fmac_f32_e32 v28, 0x3e9e377a, v5
	v_fmac_f32_e32 v35, 0x3f167918, v27
	ds_write2_b32 v55, v26, v28 offset1:1
	v_fmac_f32_e32 v35, 0x3e9e377a, v5
	v_add_f32_e32 v5, v18, v20
	v_add_f32_e32 v26, v16, v22
	v_fma_f32 v5, -0.5, v5, v24
	v_add_f32_e32 v25, v22, v24
	v_fmac_f32_e32 v24, -0.5, v26
	v_sub_f32_e32 v17, v19, v17
	v_mov_b32_e32 v19, v24
	v_sub_f32_e32 v26, v20, v22
	v_sub_f32_e32 v27, v18, v16
	v_fmac_f32_e32 v19, 0x3f737871, v17
	v_sub_f32_e32 v15, v21, v15
	v_add_f32_e32 v26, v27, v26
	v_fmac_f32_e32 v19, 0xbf167918, v15
	v_fmac_f32_e32 v24, 0xbf737871, v17
	;; [unrolled: 1-line block ×5, first 2 shown]
	ds_write_b32 v55, v35 offset:16
	ds_write2_b32 v33, v19, v24 offset0:2 offset1:3
	v_sub_f32_e32 v19, v22, v20
	v_add_f32_e32 v20, v20, v25
	v_add_f32_e32 v20, v18, v20
	v_sub_f32_e32 v18, v16, v18
	v_add_f32_e32 v16, v16, v20
	v_add_f32_e32 v20, v12, v6
	;; [unrolled: 1-line block ×4, first 2 shown]
	v_sub_f32_e32 v7, v13, v7
	v_sub_f32_e32 v13, v12, v14
	;; [unrolled: 1-line block ×4, first 2 shown]
	v_add_f32_e32 v11, v10, v12
	v_add_f32_e32 v12, v8, v20
	v_sub_f32_e32 v20, v10, v8
	v_sub_f32_e32 v8, v8, v10
	v_add_f32_e32 v10, v10, v12
	v_add_f32_e32 v12, v18, v19
	v_mov_b32_e32 v18, v5
	v_fmac_f32_e32 v18, 0xbf737871, v15
	v_fmac_f32_e32 v5, 0x3f737871, v15
	;; [unrolled: 1-line block ×6, first 2 shown]
	v_add_f32_e32 v12, v20, v13
	v_fma_f32 v13, -0.5, v21, v6
	v_fmac_f32_e32 v6, -0.5, v11
	v_mov_b32_e32 v15, v13
	v_mov_b32_e32 v11, v6
	v_fmac_f32_e32 v15, 0xbf737871, v9
	v_fmac_f32_e32 v13, 0x3f737871, v9
	;; [unrolled: 1-line block ×6, first 2 shown]
	v_add_f32_e32 v8, v8, v14
	v_fmac_f32_e32 v11, 0xbf167918, v9
	v_fmac_f32_e32 v6, 0x3f167918, v9
	s_movk_i32 s0, 0xcd
	ds_write2_b32 v33, v16, v18 offset1:1
	v_fmac_f32_e32 v15, 0x3e9e377a, v12
	v_fmac_f32_e32 v13, 0x3e9e377a, v12
	;; [unrolled: 1-line block ×4, first 2 shown]
	ds_write_b32 v33, v5 offset:16
	ds_write2_b32 v65, v10, v15 offset1:1
	ds_write2_b32 v65, v11, v6 offset0:2 offset1:3
	ds_write_b32 v65, v13 offset:16
	v_mul_lo_u16_sdwa v5, v57, s0 dst_sel:DWORD dst_unused:UNUSED_PAD src0_sel:BYTE_0 src1_sel:DWORD
	v_lshrrev_b16_e32 v80, 10, v5
	v_mul_lo_u16_e32 v5, 5, v80
	v_sub_u16_e32 v136, v57, v5
	v_mov_b32_e32 v6, 5
	v_mul_lo_u16_sdwa v7, v58, s0 dst_sel:DWORD dst_unused:UNUSED_PAD src0_sel:BYTE_0 src1_sel:DWORD
	v_lshlrev_b32_sdwa v5, v6, v136 dst_sel:DWORD dst_unused:UNUSED_PAD src0_sel:DWORD src1_sel:BYTE_0
	v_lshrrev_b16_e32 v52, 10, v7
	s_waitcnt lgkmcnt(0)
	s_barrier
	global_load_dwordx4 v[12:15], v5, s[12:13]
	v_mul_lo_u16_e32 v7, 5, v52
	s_mov_b32 s0, 0xcccd
	v_sub_u16_e32 v54, v58, v7
	v_mul_u32_u24_sdwa v7, v59, s0 dst_sel:DWORD dst_unused:UNUSED_PAD src0_sel:WORD_0 src1_sel:DWORD
	v_lshrrev_b32_e32 v10, 18, v7
	v_mul_lo_u16_e32 v7, 5, v10
	v_lshlrev_b32_sdwa v20, v6, v54 dst_sel:DWORD dst_unused:UNUSED_PAD src0_sel:DWORD src1_sel:BYTE_0
	global_load_dwordx4 v[16:19], v20, s[12:13]
	v_sub_u16_e32 v50, v59, v7
	v_mul_u32_u24_sdwa v7, v60, s0 dst_sel:DWORD dst_unused:UNUSED_PAD src0_sel:WORD_0 src1_sel:DWORD
	v_lshrrev_b32_e32 v9, 18, v7
	v_lshlrev_b32_e32 v21, 5, v50
	v_mul_lo_u16_e32 v7, 5, v9
	global_load_dwordx4 v[86:89], v21, s[12:13]
	v_sub_u16_e32 v11, v60, v7
	v_lshlrev_b32_e32 v22, 5, v11
	global_load_dwordx4 v[90:93], v22, s[12:13]
	v_mul_u32_u24_sdwa v7, v61, s0 dst_sel:DWORD dst_unused:UNUSED_PAD src0_sel:WORD_0 src1_sel:DWORD
	v_lshrrev_b32_e32 v7, 18, v7
	v_mul_lo_u16_e32 v8, 5, v7
	v_sub_u16_e32 v8, v61, v8
	v_lshlrev_b32_e32 v24, 5, v8
	global_load_dwordx4 v[94:97], v24, s[12:13]
	global_load_dwordx4 v[98:101], v5, s[12:13] offset:16
	global_load_dwordx4 v[102:105], v20, s[12:13] offset:16
	;; [unrolled: 1-line block ×4, first 2 shown]
	ds_read2_b32 v[20:21], v62 offset0:113 offset1:238
	ds_read2_b32 v[25:26], v66 offset0:101 offset1:226
	global_load_dwordx4 v[114:117], v24, s[12:13] offset:16
	ds_read2_b32 v[27:28], v70 offset0:89 offset1:214
	v_mul_u32_u24_e32 v80, 0x64, v80
	v_mul_u32_u24_e32 v52, 0x64, v52
	v_lshlrev_b32_e32 v50, 2, v50
	v_mul_u32_u24_e32 v10, 0x64, v10
	v_add3_u32 v50, 0, v10, v50
	v_lshlrev_b32_e32 v11, 2, v11
	v_mul_u32_u24_e32 v9, 0x64, v9
	v_lshlrev_b32_e32 v8, 2, v8
	v_mul_u32_u24_e32 v7, 0x64, v7
	s_movk_i32 s0, 0x47af
	s_waitcnt vmcnt(9) lgkmcnt(2)
	v_mul_f32_e32 v5, v20, v13
	v_mul_f32_e32 v39, v81, v13
	v_fma_f32 v84, v81, v12, -v5
	v_fmac_f32_e32 v39, v20, v12
	ds_read2_b32 v[12:13], v51 offset0:95 offset1:220
	s_waitcnt lgkmcnt(2)
	v_mul_f32_e32 v5, v26, v15
	v_mul_f32_e32 v41, v119, v15
	v_fma_f32 v85, v119, v14, -v5
	v_fmac_f32_e32 v41, v26, v14
	ds_read2_b32 v[14:15], v64 offset0:107 offset1:232
	s_waitcnt vmcnt(8)
	v_mul_f32_e32 v5, v21, v17
	v_fma_f32 v35, v82, v16, -v5
	s_waitcnt lgkmcnt(1)
	v_mul_f32_e32 v5, v12, v19
	v_fma_f32 v37, v124, v18, -v5
	s_waitcnt vmcnt(7)
	v_mul_f32_e32 v5, v13, v89
	v_fma_f32 v26, v125, v88, -v5
	s_waitcnt lgkmcnt(0)
	v_mul_f32_e32 v5, v14, v87
	v_fma_f32 v29, v128, v86, -v5
	s_waitcnt vmcnt(6)
	v_mul_f32_e32 v5, v15, v91
	v_mul_f32_e32 v32, v124, v19
	;; [unrolled: 1-line block ×3, first 2 shown]
	v_fma_f32 v19, v129, v90, -v5
	v_mul_f32_e32 v5, v27, v93
	v_mul_f32_e32 v30, v82, v17
	v_fmac_f32_e32 v22, v13, v88
	v_mul_f32_e32 v24, v128, v87
	v_fma_f32 v20, v132, v92, -v5
	v_mul_f32_e32 v17, v132, v93
	s_waitcnt vmcnt(5)
	v_mul_f32_e32 v5, v25, v95
	ds_read2_b32 v[87:88], v56 offset0:83 offset1:208
	v_mul_f32_e32 v13, v133, v97
	v_fmac_f32_e32 v24, v14, v86
	v_fmac_f32_e32 v17, v27, v92
	v_fma_f32 v14, v118, v94, -v5
	v_mul_f32_e32 v5, v28, v97
	v_fmac_f32_e32 v13, v28, v96
	ds_read2_b32 v[27:28], v43 offset0:71 offset1:196
	v_fmac_f32_e32 v30, v21, v16
	v_mul_f32_e32 v16, v129, v91
	v_fmac_f32_e32 v16, v15, v90
	ds_read2_b32 v[89:90], v49 offset0:65 offset1:190
	v_fma_f32 v15, v133, v96, -v5
	s_waitcnt vmcnt(4) lgkmcnt(2)
	v_mul_f32_e32 v5, v87, v99
	v_fma_f32 v86, v120, v98, -v5
	v_mul_f32_e32 v82, v120, v99
	s_waitcnt lgkmcnt(1)
	v_mul_f32_e32 v5, v28, v101
	v_fmac_f32_e32 v82, v87, v98
	v_fma_f32 v87, v123, v100, -v5
	s_waitcnt vmcnt(3)
	v_mul_f32_e32 v5, v88, v103
	v_mul_f32_e32 v46, v121, v103
	;; [unrolled: 1-line block ×3, first 2 shown]
	v_fma_f32 v79, v121, v102, -v5
	v_fmac_f32_e32 v46, v88, v102
	s_waitcnt lgkmcnt(0)
	v_mul_f32_e32 v5, v89, v105
	v_fmac_f32_e32 v48, v89, v104
	ds_read2_b32 v[88:89], v63 offset0:77 offset1:202
	s_waitcnt vmcnt(2)
	v_mul_f32_e32 v38, v127, v109
	v_fma_f32 v81, v126, v104, -v5
	v_mul_f32_e32 v5, v90, v109
	v_fmac_f32_e32 v38, v90, v108
	ds_read2_b32 v[90:91], v67 offset0:59 offset1:184
	v_fma_f32 v42, v127, v108, -v5
	s_waitcnt lgkmcnt(1)
	v_mul_f32_e32 v5, v88, v107
	v_fma_f32 v44, v130, v106, -v5
	s_waitcnt vmcnt(1)
	v_mul_f32_e32 v5, v89, v111
	v_fma_f32 v34, v131, v110, -v5
	s_waitcnt lgkmcnt(0)
	v_mul_f32_e32 v5, v90, v113
	v_fmac_f32_e32 v32, v12, v18
	v_mul_f32_e32 v12, v118, v95
	v_fma_f32 v36, v134, v112, -v5
	s_waitcnt vmcnt(0)
	v_mul_f32_e32 v5, v27, v115
	v_fmac_f32_e32 v12, v25, v94
	v_mul_f32_e32 v40, v130, v107
	v_fma_f32 v25, v122, v114, -v5
	v_mul_f32_e32 v18, v122, v115
	v_mul_f32_e32 v5, v91, v117
	;; [unrolled: 1-line block ×3, first 2 shown]
	v_fmac_f32_e32 v40, v88, v106
	v_mul_f32_e32 v31, v134, v113
	v_fmac_f32_e32 v18, v27, v114
	v_fma_f32 v27, v135, v116, -v5
	v_sub_f32_e32 v5, v84, v85
	v_sub_f32_e32 v88, v87, v86
	v_fmac_f32_e32 v83, v28, v100
	v_mul_f32_e32 v28, v131, v111
	v_fmac_f32_e32 v31, v90, v112
	v_add_f32_e32 v88, v5, v88
	v_mov_b32_e32 v5, 2
	v_add_f32_e32 v90, v85, v86
	v_fmac_f32_e32 v28, v89, v110
	v_mul_f32_e32 v21, v135, v117
	v_lshlrev_b32_sdwa v89, v5, v136 dst_sel:DWORD dst_unused:UNUSED_PAD src0_sel:DWORD src1_sel:BYTE_0
	v_fma_f32 v90, -0.5, v90, v78
	v_fmac_f32_e32 v21, v91, v116
	v_add3_u32 v80, 0, v80, v89
	v_add_f32_e32 v89, v78, v84
	v_sub_f32_e32 v91, v39, v83
	v_mov_b32_e32 v92, v90
	v_add_f32_e32 v89, v89, v85
	v_fmac_f32_e32 v92, 0x3f737871, v91
	v_sub_f32_e32 v93, v41, v82
	v_add_f32_e32 v89, v89, v86
	v_fmac_f32_e32 v92, 0x3f167918, v93
	v_add_f32_e32 v89, v89, v87
	v_fmac_f32_e32 v92, 0x3e9e377a, v88
	ds_read_b32 v94, v53
	ds_read_b32 v95, v23
	;; [unrolled: 1-line block ×5, first 2 shown]
	s_waitcnt lgkmcnt(0)
	s_barrier
	ds_write2_b32 v80, v89, v92 offset1:5
	v_add_f32_e32 v89, v84, v87
	v_fmac_f32_e32 v78, -0.5, v89
	v_sub_f32_e32 v89, v85, v84
	v_sub_f32_e32 v92, v86, v87
	v_add_f32_e32 v89, v89, v92
	v_mov_b32_e32 v92, v78
	v_fmac_f32_e32 v92, 0xbf737871, v93
	v_fmac_f32_e32 v78, 0x3f737871, v93
	;; [unrolled: 1-line block ×8, first 2 shown]
	ds_write2_b32 v80, v92, v78 offset0:10 offset1:15
	v_fmac_f32_e32 v90, 0x3e9e377a, v88
	v_sub_f32_e32 v78, v35, v37
	v_sub_f32_e32 v88, v81, v79
	v_add_f32_e32 v78, v78, v88
	v_add_f32_e32 v88, v37, v79
	v_lshlrev_b32_sdwa v54, v5, v54 dst_sel:DWORD dst_unused:UNUSED_PAD src0_sel:DWORD src1_sel:BYTE_0
	v_fma_f32 v88, -0.5, v88, v77
	ds_write_b32 v80, v90 offset:80
	v_add3_u32 v52, 0, v52, v54
	v_add_f32_e32 v54, v77, v35
	v_sub_f32_e32 v89, v30, v48
	v_mov_b32_e32 v90, v88
	v_add_f32_e32 v54, v54, v37
	v_fmac_f32_e32 v90, 0x3f737871, v89
	v_sub_f32_e32 v91, v32, v46
	v_add_f32_e32 v54, v54, v79
	v_fmac_f32_e32 v90, 0x3f167918, v91
	v_add_f32_e32 v54, v54, v81
	v_fmac_f32_e32 v90, 0x3e9e377a, v78
	ds_write2_b32 v52, v54, v90 offset1:5
	v_add_f32_e32 v54, v35, v81
	v_fmac_f32_e32 v77, -0.5, v54
	v_sub_f32_e32 v54, v37, v35
	v_sub_f32_e32 v90, v79, v81
	v_add_f32_e32 v54, v54, v90
	v_mov_b32_e32 v90, v77
	v_fmac_f32_e32 v90, 0xbf737871, v91
	v_fmac_f32_e32 v77, 0x3f737871, v91
	;; [unrolled: 1-line block ×6, first 2 shown]
	ds_write2_b32 v52, v90, v77 offset0:10 offset1:15
	v_fmac_f32_e32 v88, 0xbf737871, v89
	v_sub_f32_e32 v54, v29, v26
	v_sub_f32_e32 v77, v42, v44
	v_fmac_f32_e32 v88, 0xbf167918, v91
	v_add_f32_e32 v54, v54, v77
	v_add_f32_e32 v77, v26, v44
	v_fmac_f32_e32 v88, 0x3e9e377a, v78
	v_fma_f32 v77, -0.5, v77, v76
	ds_write_b32 v52, v88 offset:80
	v_add_f32_e32 v10, v76, v29
	v_sub_f32_e32 v78, v24, v38
	v_mov_b32_e32 v88, v77
	v_add_f32_e32 v10, v10, v26
	v_fmac_f32_e32 v88, 0x3f737871, v78
	v_sub_f32_e32 v89, v22, v40
	v_add_f32_e32 v10, v10, v44
	v_fmac_f32_e32 v88, 0x3f167918, v89
	v_add_f32_e32 v10, v10, v42
	v_fmac_f32_e32 v88, 0x3e9e377a, v54
	ds_write2_b32 v50, v10, v88 offset1:5
	v_add_f32_e32 v10, v29, v42
	v_fmac_f32_e32 v76, -0.5, v10
	v_sub_f32_e32 v10, v26, v29
	v_sub_f32_e32 v88, v44, v42
	v_add_f32_e32 v10, v10, v88
	v_mov_b32_e32 v88, v76
	v_fmac_f32_e32 v88, 0xbf737871, v89
	v_fmac_f32_e32 v76, 0x3f737871, v89
	;; [unrolled: 1-line block ×9, first 2 shown]
	v_sub_f32_e32 v10, v19, v20
	v_sub_f32_e32 v54, v36, v34
	v_add_f32_e32 v10, v10, v54
	v_add3_u32 v54, 0, v9, v11
	v_add_f32_e32 v11, v20, v34
	v_fma_f32 v11, -0.5, v11, v75
	ds_write2_b32 v50, v88, v76 offset0:10 offset1:15
	ds_write_b32 v50, v77 offset:80
	v_add_f32_e32 v9, v75, v19
	v_sub_f32_e32 v76, v16, v31
	v_mov_b32_e32 v77, v11
	v_add_f32_e32 v9, v9, v20
	v_fmac_f32_e32 v77, 0x3f737871, v76
	v_sub_f32_e32 v78, v17, v28
	v_add_f32_e32 v9, v9, v34
	v_fmac_f32_e32 v77, 0x3f167918, v78
	v_add_f32_e32 v9, v9, v36
	v_fmac_f32_e32 v77, 0x3e9e377a, v10
	ds_write2_b32 v54, v9, v77 offset1:5
	v_add_f32_e32 v9, v19, v36
	v_fmac_f32_e32 v75, -0.5, v9
	v_sub_f32_e32 v9, v20, v19
	v_sub_f32_e32 v77, v34, v36
	v_add_f32_e32 v9, v9, v77
	v_mov_b32_e32 v77, v75
	v_fmac_f32_e32 v77, 0xbf737871, v78
	v_fmac_f32_e32 v75, 0x3f737871, v78
	;; [unrolled: 1-line block ×7, first 2 shown]
	ds_write2_b32 v54, v77, v75 offset0:10 offset1:15
	v_fmac_f32_e32 v11, 0xbf167918, v78
	v_add3_u32 v75, 0, v7, v8
	v_add_f32_e32 v8, v15, v25
	v_fmac_f32_e32 v11, 0x3e9e377a, v10
	v_sub_f32_e32 v9, v14, v15
	v_sub_f32_e32 v10, v27, v25
	v_fma_f32 v8, -0.5, v8, v74
	v_add_f32_e32 v9, v9, v10
	ds_write_b32 v54, v11 offset:80
	v_add_f32_e32 v7, v74, v14
	v_sub_f32_e32 v10, v12, v21
	v_mov_b32_e32 v11, v8
	v_add_f32_e32 v7, v7, v15
	v_fmac_f32_e32 v11, 0x3f737871, v10
	v_sub_f32_e32 v76, v13, v18
	v_add_f32_e32 v7, v7, v25
	v_fmac_f32_e32 v11, 0x3f167918, v76
	v_add_f32_e32 v7, v7, v27
	v_fmac_f32_e32 v11, 0x3e9e377a, v9
	ds_write2_b32 v75, v7, v11 offset1:5
	v_add_f32_e32 v7, v14, v27
	v_fmac_f32_e32 v74, -0.5, v7
	v_sub_f32_e32 v7, v15, v14
	v_sub_f32_e32 v11, v25, v27
	v_add_f32_e32 v7, v7, v11
	v_mov_b32_e32 v11, v74
	v_fmac_f32_e32 v11, 0xbf737871, v76
	v_fmac_f32_e32 v74, 0x3f737871, v76
	;; [unrolled: 1-line block ×6, first 2 shown]
	ds_write2_b32 v75, v11, v74 offset0:10 offset1:15
	v_sub_f32_e32 v7, v39, v41
	v_sub_f32_e32 v11, v83, v82
	v_add_f32_e32 v78, v7, v11
	v_add_f32_e32 v7, v94, v39
	;; [unrolled: 1-line block ×3, first 2 shown]
	v_fmac_f32_e32 v8, 0xbf737871, v10
	v_add_f32_e32 v7, v7, v82
	v_fmac_f32_e32 v8, 0xbf167918, v76
	v_add_f32_e32 v76, v7, v83
	v_add_f32_e32 v7, v41, v82
	v_sub_f32_e32 v74, v84, v87
	v_fma_f32 v84, -0.5, v7, v94
	v_sub_f32_e32 v77, v85, v86
	v_mov_b32_e32 v85, v84
	v_fmac_f32_e32 v85, 0xbf737871, v74
	v_fmac_f32_e32 v85, 0xbf167918, v77
	v_fmac_f32_e32 v8, 0x3e9e377a, v9
	v_fmac_f32_e32 v85, 0x3e9e377a, v78
	ds_write_b32 v75, v8 offset:80
	s_waitcnt lgkmcnt(0)
	s_barrier
	ds_read_b32 v11, v53
	ds_read_b32 v10, v23
	;; [unrolled: 1-line block ×5, first 2 shown]
	ds_read2_b32 v[113:114], v62 offset0:113 offset1:238
	ds_read2_b32 v[115:116], v66 offset0:101 offset1:226
	;; [unrolled: 1-line block ×10, first 2 shown]
	s_waitcnt lgkmcnt(0)
	s_barrier
	ds_write2_b32 v80, v76, v85 offset1:5
	v_add_f32_e32 v76, v39, v83
	v_fmac_f32_e32 v94, -0.5, v76
	v_sub_f32_e32 v39, v41, v39
	v_sub_f32_e32 v41, v82, v83
	v_add_f32_e32 v39, v39, v41
	v_mov_b32_e32 v41, v94
	v_fmac_f32_e32 v41, 0x3f737871, v77
	v_fmac_f32_e32 v94, 0xbf737871, v77
	;; [unrolled: 1-line block ×7, first 2 shown]
	v_add_f32_e32 v74, v32, v46
	ds_write2_b32 v80, v41, v94 offset0:10 offset1:15
	v_sub_f32_e32 v39, v30, v32
	v_sub_f32_e32 v41, v48, v46
	v_fma_f32 v74, -0.5, v74, v95
	v_sub_f32_e32 v35, v35, v81
	v_add_f32_e32 v39, v39, v41
	v_add_f32_e32 v41, v95, v30
	v_mov_b32_e32 v76, v74
	v_sub_f32_e32 v37, v37, v79
	v_add_f32_e32 v41, v41, v32
	v_fmac_f32_e32 v76, 0xbf737871, v35
	v_fmac_f32_e32 v84, 0x3f167918, v77
	v_add_f32_e32 v41, v41, v46
	v_fmac_f32_e32 v76, 0xbf167918, v37
	v_fmac_f32_e32 v84, 0x3e9e377a, v78
	v_add_f32_e32 v41, v41, v48
	v_fmac_f32_e32 v76, 0x3e9e377a, v39
	ds_write_b32 v80, v84 offset:80
	ds_write2_b32 v52, v41, v76 offset1:5
	v_add_f32_e32 v41, v30, v48
	v_fmac_f32_e32 v95, -0.5, v41
	v_sub_f32_e32 v30, v32, v30
	v_sub_f32_e32 v32, v46, v48
	v_add_f32_e32 v30, v30, v32
	v_mov_b32_e32 v32, v95
	v_fmac_f32_e32 v32, 0x3f737871, v37
	v_fmac_f32_e32 v95, 0xbf737871, v37
	;; [unrolled: 1-line block ×7, first 2 shown]
	v_add_f32_e32 v35, v22, v40
	ds_write2_b32 v52, v32, v95 offset0:10 offset1:15
	v_sub_f32_e32 v30, v24, v22
	v_sub_f32_e32 v32, v38, v40
	v_fma_f32 v35, -0.5, v35, v96
	v_fmac_f32_e32 v74, 0x3f167918, v37
	v_sub_f32_e32 v29, v29, v42
	v_add_f32_e32 v30, v30, v32
	v_add_f32_e32 v32, v96, v24
	v_mov_b32_e32 v37, v35
	v_sub_f32_e32 v26, v26, v44
	v_add_f32_e32 v32, v32, v22
	v_fmac_f32_e32 v37, 0xbf737871, v29
	v_add_f32_e32 v32, v32, v40
	v_fmac_f32_e32 v37, 0xbf167918, v26
	v_fmac_f32_e32 v74, 0x3e9e377a, v39
	v_add_f32_e32 v32, v32, v38
	v_fmac_f32_e32 v37, 0x3e9e377a, v30
	ds_write_b32 v52, v74 offset:80
	ds_write2_b32 v50, v32, v37 offset1:5
	v_add_f32_e32 v32, v24, v38
	v_fmac_f32_e32 v96, -0.5, v32
	v_sub_f32_e32 v22, v22, v24
	v_sub_f32_e32 v24, v40, v38
	v_add_f32_e32 v22, v22, v24
	v_mov_b32_e32 v24, v96
	v_fmac_f32_e32 v24, 0x3f737871, v26
	v_fmac_f32_e32 v96, 0xbf737871, v26
	;; [unrolled: 1-line block ×8, first 2 shown]
	v_add_f32_e32 v26, v17, v28
	ds_write2_b32 v50, v24, v96 offset0:10 offset1:15
	v_sub_f32_e32 v22, v16, v17
	v_sub_f32_e32 v24, v31, v28
	v_fma_f32 v26, -0.5, v26, v97
	v_sub_f32_e32 v19, v19, v36
	v_add_f32_e32 v22, v22, v24
	v_add_f32_e32 v24, v97, v16
	v_mov_b32_e32 v29, v26
	v_sub_f32_e32 v20, v20, v34
	v_add_f32_e32 v24, v24, v17
	v_fmac_f32_e32 v29, 0xbf737871, v19
	v_add_f32_e32 v24, v24, v28
	v_fmac_f32_e32 v29, 0xbf167918, v20
	v_fmac_f32_e32 v35, 0x3e9e377a, v30
	v_add_f32_e32 v24, v24, v31
	v_fmac_f32_e32 v29, 0x3e9e377a, v22
	ds_write_b32 v50, v35 offset:80
	ds_write2_b32 v54, v24, v29 offset1:5
	v_add_f32_e32 v24, v16, v31
	v_fmac_f32_e32 v97, -0.5, v24
	v_sub_f32_e32 v16, v17, v16
	v_sub_f32_e32 v17, v28, v31
	v_add_f32_e32 v16, v16, v17
	v_mov_b32_e32 v17, v97
	v_fmac_f32_e32 v17, 0x3f737871, v20
	v_fmac_f32_e32 v97, 0xbf737871, v20
	;; [unrolled: 1-line block ×5, first 2 shown]
	v_add_f32_e32 v19, v13, v18
	v_fma_f32 v19, -0.5, v19, v98
	v_fmac_f32_e32 v17, 0x3e9e377a, v16
	v_fmac_f32_e32 v97, 0x3e9e377a, v16
	;; [unrolled: 1-line block ×3, first 2 shown]
	v_sub_f32_e32 v14, v14, v27
	v_mov_b32_e32 v20, v19
	ds_write2_b32 v54, v17, v97 offset0:10 offset1:15
	v_sub_f32_e32 v15, v15, v25
	v_sub_f32_e32 v16, v12, v13
	v_sub_f32_e32 v17, v21, v18
	v_fmac_f32_e32 v20, 0xbf737871, v14
	v_fmac_f32_e32 v19, 0x3f737871, v14
	v_add_f32_e32 v16, v16, v17
	v_fmac_f32_e32 v20, 0xbf167918, v15
	v_fmac_f32_e32 v19, 0x3f167918, v15
	v_add_f32_e32 v17, v98, v12
	;; [unrolled: 3-line block ×3, first 2 shown]
	v_add_f32_e32 v17, v17, v13
	v_fmac_f32_e32 v98, -0.5, v16
	v_sub_f32_e32 v12, v13, v12
	v_sub_f32_e32 v13, v18, v21
	v_add_f32_e32 v12, v12, v13
	v_mov_b32_e32 v13, v98
	v_fmac_f32_e32 v13, 0x3f737871, v15
	v_fmac_f32_e32 v98, 0xbf737871, v15
	v_add_f32_e32 v17, v17, v18
	v_fmac_f32_e32 v13, 0xbf167918, v14
	v_fmac_f32_e32 v98, 0x3f167918, v14
	;; [unrolled: 1-line block ×3, first 2 shown]
	v_add_f32_e32 v17, v17, v21
	v_fmac_f32_e32 v13, 0x3e9e377a, v12
	v_fmac_f32_e32 v98, 0x3e9e377a, v12
	v_mov_b32_e32 v12, 41
	ds_write_b32 v54, v26 offset:80
	ds_write2_b32 v75, v17, v20 offset1:5
	ds_write2_b32 v75, v13, v98 offset0:10 offset1:15
	ds_write_b32 v75, v19 offset:80
	v_mul_lo_u16_sdwa v13, v57, v12 dst_sel:DWORD dst_unused:UNUSED_PAD src0_sel:BYTE_0 src1_sel:DWORD
	v_mul_lo_u16_sdwa v12, v58, v12 dst_sel:DWORD dst_unused:UNUSED_PAD src0_sel:BYTE_0 src1_sel:DWORD
	v_lshrrev_b16_e32 v54, 10, v12
	v_lshrrev_b16_e32 v77, 10, v13
	v_mul_lo_u16_e32 v12, 25, v54
	v_mul_lo_u16_e32 v13, 25, v77
	v_sub_u16_e32 v78, v58, v12
	v_mul_u32_u24_sdwa v12, v59, s0 dst_sel:DWORD dst_unused:UNUSED_PAD src0_sel:WORD_0 src1_sel:DWORD
	v_sub_u16_e32 v133, v57, v13
	v_sub_u16_sdwa v13, v59, v12 dst_sel:DWORD dst_unused:UNUSED_PAD src0_sel:DWORD src1_sel:WORD_1
	v_lshrrev_b16_e32 v13, 1, v13
	v_add_u16_sdwa v12, v13, v12 dst_sel:DWORD dst_unused:UNUSED_PAD src0_sel:DWORD src1_sel:WORD_1
	v_lshrrev_b16_e32 v48, 4, v12
	v_mul_lo_u16_e32 v12, 25, v48
	v_sub_u16_e32 v74, v59, v12
	v_mul_u32_u24_sdwa v12, v60, s0 dst_sel:DWORD dst_unused:UNUSED_PAD src0_sel:WORD_0 src1_sel:DWORD
	v_lshlrev_b32_sdwa v22, v6, v133 dst_sel:DWORD dst_unused:UNUSED_PAD src0_sel:DWORD src1_sel:BYTE_0
	v_sub_u16_sdwa v13, v60, v12 dst_sel:DWORD dst_unused:UNUSED_PAD src0_sel:DWORD src1_sel:WORD_1
	s_waitcnt lgkmcnt(0)
	s_barrier
	global_load_dwordx4 v[14:17], v22, s[12:13] offset:160
	v_lshrrev_b16_e32 v13, 1, v13
	v_lshlrev_b32_sdwa v6, v6, v78 dst_sel:DWORD dst_unused:UNUSED_PAD src0_sel:DWORD src1_sel:BYTE_0
	global_load_dwordx4 v[18:21], v6, s[12:13] offset:160
	v_add_u16_sdwa v12, v13, v12 dst_sel:DWORD dst_unused:UNUSED_PAD src0_sel:DWORD src1_sel:WORD_1
	v_lshrrev_b16_e32 v50, 4, v12
	v_mul_lo_u16_e32 v12, 25, v50
	v_sub_u16_e32 v75, v60, v12
	v_mul_u32_u24_sdwa v12, v61, s0 dst_sel:DWORD dst_unused:UNUSED_PAD src0_sel:WORD_0 src1_sel:DWORD
	v_sub_u16_sdwa v13, v61, v12 dst_sel:DWORD dst_unused:UNUSED_PAD src0_sel:DWORD src1_sel:WORD_1
	v_lshlrev_b32_e32 v24, 5, v74
	v_lshrrev_b16_e32 v13, 1, v13
	global_load_dwordx4 v[79:82], v24, s[12:13] offset:160
	v_lshlrev_b32_e32 v25, 5, v75
	global_load_dwordx4 v[85:88], v25, s[12:13] offset:160
	v_add_u16_sdwa v12, v13, v12 dst_sel:DWORD dst_unused:UNUSED_PAD src0_sel:DWORD src1_sel:WORD_1
	v_lshrrev_b16_e32 v12, 4, v12
	v_mul_lo_u16_e32 v13, 25, v12
	v_sub_u16_e32 v13, v61, v13
	v_lshlrev_b32_e32 v28, 5, v13
	global_load_dwordx4 v[89:92], v28, s[12:13] offset:160
	global_load_dwordx4 v[93:96], v22, s[12:13] offset:176
	;; [unrolled: 1-line block ×5, first 2 shown]
	ds_read2_b32 v[24:25], v62 offset0:113 offset1:238
	ds_read2_b32 v[26:27], v66 offset0:101 offset1:226
	global_load_dwordx4 v[109:112], v28, s[12:13] offset:176
	ds_read2_b32 v[28:29], v70 offset0:89 offset1:214
	v_mul_u32_u24_e32 v77, 0x1f4, v77
	v_mul_u32_u24_e32 v54, 0x1f4, v54
	;; [unrolled: 1-line block ×3, first 2 shown]
	s_waitcnt vmcnt(9) lgkmcnt(2)
	v_mul_f32_e32 v6, v24, v15
	v_mul_f32_e32 v40, v113, v15
	v_fma_f32 v83, v113, v14, -v6
	v_fmac_f32_e32 v40, v24, v14
	s_waitcnt lgkmcnt(1)
	v_mul_f32_e32 v6, v27, v17
	ds_read2_b32 v[14:15], v51 offset0:95 offset1:220
	v_fma_f32 v84, v116, v16, -v6
	s_waitcnt vmcnt(8)
	v_mul_f32_e32 v6, v25, v19
	v_mul_f32_e32 v31, v114, v19
	;; [unrolled: 1-line block ×3, first 2 shown]
	v_fma_f32 v36, v114, v18, -v6
	v_fmac_f32_e32 v31, v25, v18
	ds_read2_b32 v[17:18], v64 offset0:107 offset1:232
	s_waitcnt lgkmcnt(1)
	v_mul_f32_e32 v6, v14, v21
	v_fma_f32 v38, v121, v20, -v6
	v_mul_f32_e32 v34, v121, v21
	s_waitcnt vmcnt(7)
	v_mul_f32_e32 v6, v15, v82
	v_mul_f32_e32 v25, v125, v80
	v_fmac_f32_e32 v42, v27, v16
	v_fmac_f32_e32 v34, v14, v20
	v_fma_f32 v27, v122, v81, -v6
	s_waitcnt lgkmcnt(0)
	v_mul_f32_e32 v6, v17, v80
	v_fmac_f32_e32 v25, v17, v79
	s_waitcnt vmcnt(6)
	v_mul_f32_e32 v17, v126, v86
	s_waitcnt vmcnt(5)
	v_mul_f32_e32 v14, v29, v92
	v_fma_f32 v30, v125, v79, -v6
	v_mul_f32_e32 v6, v18, v86
	v_fmac_f32_e32 v17, v18, v85
	v_mul_f32_e32 v18, v129, v88
	ds_read2_b32 v[79:80], v56 offset0:83 offset1:208
	v_fma_f32 v16, v130, v91, -v14
	v_mul_f32_e32 v14, v130, v92
	v_fma_f32 v19, v126, v85, -v6
	v_mul_f32_e32 v6, v28, v88
	v_fmac_f32_e32 v18, v28, v87
	v_fmac_f32_e32 v14, v29, v91
	ds_read2_b32 v[28:29], v43 offset0:71 offset1:196
	v_fma_f32 v21, v129, v87, -v6
	ds_read2_b32 v[87:88], v49 offset0:65 offset1:190
	v_mul_f32_e32 v24, v122, v82
	v_mul_f32_e32 v6, v26, v90
	s_waitcnt vmcnt(4) lgkmcnt(2)
	v_mul_f32_e32 v20, v79, v94
	v_fmac_f32_e32 v24, v15, v81
	v_fma_f32 v15, v115, v89, -v6
	v_mul_f32_e32 v6, v115, v90
	v_fma_f32 v85, v117, v93, -v20
	s_waitcnt lgkmcnt(1)
	v_mul_f32_e32 v20, v29, v96
	v_fmac_f32_e32 v6, v26, v89
	v_mul_f32_e32 v81, v117, v94
	v_fma_f32 v86, v120, v95, -v20
	s_waitcnt vmcnt(3)
	v_mul_f32_e32 v20, v80, v98
	ds_read2_b32 v[89:90], v63 offset0:77 offset1:202
	v_fmac_f32_e32 v81, v79, v93
	v_fma_f32 v79, v118, v97, -v20
	v_mul_f32_e32 v52, v118, v98
	s_waitcnt lgkmcnt(1)
	v_mul_f32_e32 v20, v87, v100
	v_mul_f32_e32 v76, v123, v100
	s_waitcnt vmcnt(2)
	v_mul_f32_e32 v39, v124, v104
	v_fmac_f32_e32 v52, v80, v97
	v_fma_f32 v80, v123, v99, -v20
	v_fmac_f32_e32 v76, v87, v99
	v_mul_f32_e32 v20, v88, v104
	v_fmac_f32_e32 v39, v88, v103
	ds_read2_b32 v[87:88], v67 offset0:59 offset1:184
	v_fma_f32 v44, v124, v103, -v20
	s_waitcnt lgkmcnt(1)
	v_mul_f32_e32 v20, v89, v102
	v_fma_f32 v46, v127, v101, -v20
	s_waitcnt vmcnt(1)
	v_mul_f32_e32 v20, v90, v106
	v_fma_f32 v35, v128, v105, -v20
	s_waitcnt lgkmcnt(0)
	v_mul_f32_e32 v20, v87, v108
	v_fma_f32 v37, v131, v107, -v20
	s_waitcnt vmcnt(0)
	v_mul_f32_e32 v20, v28, v110
	v_fma_f32 v26, v119, v109, -v20
	v_mul_f32_e32 v20, v119, v110
	v_mul_f32_e32 v22, v88, v112
	;; [unrolled: 1-line block ×4, first 2 shown]
	v_fmac_f32_e32 v20, v28, v109
	v_fma_f32 v28, v132, v111, -v22
	v_mul_f32_e32 v22, v132, v112
	v_mul_f32_e32 v82, v120, v96
	v_fmac_f32_e32 v41, v89, v101
	v_fmac_f32_e32 v32, v87, v107
	;; [unrolled: 1-line block ×3, first 2 shown]
	v_sub_f32_e32 v87, v83, v84
	v_sub_f32_e32 v88, v86, v85
	v_add_f32_e32 v89, v84, v85
	v_fmac_f32_e32 v82, v29, v95
	v_mul_f32_e32 v29, v128, v106
	v_add_f32_e32 v87, v87, v88
	v_lshlrev_b32_sdwa v88, v5, v133 dst_sel:DWORD dst_unused:UNUSED_PAD src0_sel:DWORD src1_sel:BYTE_0
	v_fma_f32 v89, -0.5, v89, v11
	v_fmac_f32_e32 v29, v90, v105
	v_add3_u32 v88, 0, v77, v88
	v_add_f32_e32 v77, v11, v83
	v_sub_f32_e32 v90, v40, v82
	v_mov_b32_e32 v91, v89
	v_add_f32_e32 v77, v77, v84
	v_fmac_f32_e32 v91, 0x3f737871, v90
	v_sub_f32_e32 v92, v42, v81
	v_add_f32_e32 v77, v77, v85
	v_fmac_f32_e32 v91, 0x3f167918, v92
	v_add_f32_e32 v77, v77, v86
	v_fmac_f32_e32 v91, 0x3e9e377a, v87
	ds_read_b32 v96, v53
	ds_read_b32 v97, v23
	ds_read_b32 v98, v45
	ds_read_b32 v99, v47
	ds_read_b32 v100, v73
	s_waitcnt lgkmcnt(0)
	s_barrier
	ds_write2_b32 v88, v77, v91 offset1:25
	v_add_f32_e32 v77, v83, v86
	v_fmac_f32_e32 v11, -0.5, v77
	v_sub_f32_e32 v77, v84, v83
	v_sub_f32_e32 v91, v85, v86
	v_add_f32_e32 v77, v77, v91
	v_mov_b32_e32 v91, v11
	v_fmac_f32_e32 v91, 0xbf737871, v92
	v_fmac_f32_e32 v11, 0x3f737871, v92
	;; [unrolled: 1-line block ×6, first 2 shown]
	ds_write2_b32 v88, v91, v11 offset0:50 offset1:75
	v_sub_f32_e32 v11, v36, v38
	v_sub_f32_e32 v77, v80, v79
	v_fmac_f32_e32 v89, 0xbf737871, v90
	v_add_f32_e32 v11, v11, v77
	v_add_f32_e32 v77, v38, v79
	v_lshlrev_b32_sdwa v5, v5, v78 dst_sel:DWORD dst_unused:UNUSED_PAD src0_sel:DWORD src1_sel:BYTE_0
	v_fmac_f32_e32 v89, 0xbf167918, v92
	v_fma_f32 v77, -0.5, v77, v10
	v_fmac_f32_e32 v89, 0x3e9e377a, v87
	v_add3_u32 v5, 0, v54, v5
	v_add_f32_e32 v54, v10, v36
	v_sub_f32_e32 v78, v31, v76
	v_mov_b32_e32 v87, v77
	ds_write_b32 v88, v89 offset:400
	v_add_f32_e32 v54, v54, v38
	v_fmac_f32_e32 v87, 0x3f737871, v78
	v_sub_f32_e32 v89, v34, v52
	v_add_f32_e32 v54, v54, v79
	v_fmac_f32_e32 v87, 0x3f167918, v89
	v_add_f32_e32 v54, v54, v80
	v_fmac_f32_e32 v87, 0x3e9e377a, v11
	ds_write2_b32 v5, v54, v87 offset1:25
	v_add_f32_e32 v54, v36, v80
	v_fmac_f32_e32 v10, -0.5, v54
	v_sub_f32_e32 v54, v38, v36
	v_sub_f32_e32 v87, v79, v80
	v_add_f32_e32 v54, v54, v87
	v_mov_b32_e32 v87, v10
	v_fmac_f32_e32 v87, 0xbf737871, v89
	v_fmac_f32_e32 v10, 0x3f737871, v89
	;; [unrolled: 1-line block ×8, first 2 shown]
	ds_write2_b32 v5, v87, v10 offset0:50 offset1:75
	v_fmac_f32_e32 v77, 0x3e9e377a, v11
	v_sub_f32_e32 v10, v30, v27
	v_sub_f32_e32 v11, v44, v46
	v_add_f32_e32 v54, v27, v46
	v_add_f32_e32 v10, v10, v11
	v_lshlrev_b32_e32 v11, 2, v74
	v_fma_f32 v54, -0.5, v54, v9
	ds_write_b32 v5, v77 offset:400
	v_add3_u32 v48, 0, v48, v11
	v_add_f32_e32 v11, v9, v30
	v_sub_f32_e32 v74, v25, v39
	v_mov_b32_e32 v77, v54
	v_add_f32_e32 v11, v11, v27
	v_fmac_f32_e32 v77, 0x3f737871, v74
	v_sub_f32_e32 v78, v24, v41
	v_add_f32_e32 v11, v11, v46
	v_fmac_f32_e32 v77, 0x3f167918, v78
	v_add_f32_e32 v11, v11, v44
	v_fmac_f32_e32 v77, 0x3e9e377a, v10
	ds_write2_b32 v48, v11, v77 offset1:25
	v_add_f32_e32 v11, v30, v44
	v_fmac_f32_e32 v9, -0.5, v11
	v_sub_f32_e32 v11, v27, v30
	v_sub_f32_e32 v77, v46, v44
	v_add_f32_e32 v11, v11, v77
	v_mov_b32_e32 v77, v9
	v_fmac_f32_e32 v77, 0xbf737871, v78
	v_fmac_f32_e32 v9, 0x3f737871, v78
	;; [unrolled: 1-line block ×8, first 2 shown]
	ds_write2_b32 v48, v77, v9 offset0:50 offset1:75
	v_fmac_f32_e32 v54, 0x3e9e377a, v10
	v_sub_f32_e32 v9, v19, v21
	v_sub_f32_e32 v10, v37, v35
	v_add_f32_e32 v9, v9, v10
	v_lshlrev_b32_e32 v10, 2, v75
	v_mul_u32_u24_e32 v11, 0x1f4, v50
	v_add3_u32 v50, 0, v11, v10
	v_add_f32_e32 v11, v21, v35
	v_fma_f32 v11, -0.5, v11, v8
	ds_write_b32 v48, v54 offset:400
	v_add_f32_e32 v10, v8, v19
	v_sub_f32_e32 v54, v17, v32
	v_mov_b32_e32 v74, v11
	v_add_f32_e32 v10, v10, v21
	v_fmac_f32_e32 v74, 0x3f737871, v54
	v_sub_f32_e32 v75, v18, v29
	v_add_f32_e32 v10, v10, v35
	v_fmac_f32_e32 v74, 0x3f167918, v75
	v_add_f32_e32 v10, v10, v37
	v_fmac_f32_e32 v74, 0x3e9e377a, v9
	ds_write2_b32 v50, v10, v74 offset1:25
	v_add_f32_e32 v10, v19, v37
	v_fmac_f32_e32 v8, -0.5, v10
	v_sub_f32_e32 v10, v21, v19
	v_sub_f32_e32 v74, v35, v37
	v_add_f32_e32 v10, v10, v74
	v_mov_b32_e32 v74, v8
	v_fmac_f32_e32 v74, 0xbf737871, v75
	v_fmac_f32_e32 v8, 0x3f737871, v75
	;; [unrolled: 1-line block ×8, first 2 shown]
	ds_write2_b32 v50, v74, v8 offset0:50 offset1:75
	v_fmac_f32_e32 v11, 0x3e9e377a, v9
	v_sub_f32_e32 v8, v15, v16
	v_sub_f32_e32 v9, v28, v26
	v_add_f32_e32 v8, v8, v9
	v_lshlrev_b32_e32 v9, 2, v13
	v_mul_u32_u24_e32 v10, 0x1f4, v12
	v_add3_u32 v54, 0, v10, v9
	v_add_f32_e32 v10, v16, v26
	v_fma_f32 v10, -0.5, v10, v7
	ds_write_b32 v50, v11 offset:400
	v_add_f32_e32 v9, v7, v15
	v_sub_f32_e32 v11, v6, v22
	v_mov_b32_e32 v12, v10
	v_add_f32_e32 v9, v9, v16
	v_fmac_f32_e32 v12, 0x3f737871, v11
	v_sub_f32_e32 v13, v14, v20
	v_add_f32_e32 v9, v9, v26
	v_fmac_f32_e32 v12, 0x3f167918, v13
	v_add_f32_e32 v9, v9, v28
	v_fmac_f32_e32 v12, 0x3e9e377a, v8
	ds_write2_b32 v54, v9, v12 offset1:25
	v_add_f32_e32 v9, v15, v28
	v_fmac_f32_e32 v7, -0.5, v9
	v_sub_f32_e32 v9, v16, v15
	v_sub_f32_e32 v12, v26, v28
	v_add_f32_e32 v9, v9, v12
	v_mov_b32_e32 v12, v7
	v_fmac_f32_e32 v12, 0xbf737871, v13
	v_fmac_f32_e32 v7, 0x3f737871, v13
	;; [unrolled: 1-line block ×6, first 2 shown]
	ds_write2_b32 v54, v12, v7 offset0:50 offset1:75
	v_sub_f32_e32 v9, v40, v42
	v_sub_f32_e32 v12, v82, v81
	;; [unrolled: 1-line block ×3, first 2 shown]
	v_add_f32_e32 v86, v9, v12
	v_fmac_f32_e32 v10, 0xbf737871, v11
	v_add_f32_e32 v9, v42, v81
	v_fmac_f32_e32 v10, 0xbf167918, v13
	v_fma_f32 v87, -0.5, v9, v96
	v_fmac_f32_e32 v10, 0x3e9e377a, v8
	v_add_f32_e32 v8, v96, v40
	v_mov_b32_e32 v89, v87
	v_sub_f32_e32 v85, v84, v85
	v_add_f32_e32 v8, v8, v42
	v_fmac_f32_e32 v89, 0xbf737871, v7
	v_add_f32_e32 v8, v8, v81
	v_fmac_f32_e32 v89, 0xbf167918, v85
	;; [unrolled: 2-line block ×3, first 2 shown]
	ds_write_b32 v54, v10 offset:400
	s_waitcnt lgkmcnt(0)
	s_barrier
	ds_read_b32 v13, v53
	ds_read_b32 v12, v23
	;; [unrolled: 1-line block ×5, first 2 shown]
	ds_read2_b32 v[74:75], v62 offset0:113 offset1:238
	ds_read2_b32 v[77:78], v66 offset0:101 offset1:226
	;; [unrolled: 1-line block ×10, first 2 shown]
	s_waitcnt lgkmcnt(0)
	s_barrier
	ds_write2_b32 v88, v8, v89 offset1:25
	v_add_f32_e32 v8, v40, v82
	v_fmac_f32_e32 v96, -0.5, v8
	v_sub_f32_e32 v8, v42, v40
	v_sub_f32_e32 v40, v81, v82
	v_add_f32_e32 v8, v8, v40
	v_mov_b32_e32 v40, v96
	v_fmac_f32_e32 v40, 0x3f737871, v85
	v_fmac_f32_e32 v96, 0xbf737871, v85
	;; [unrolled: 1-line block ×6, first 2 shown]
	ds_write2_b32 v88, v40, v96 offset0:50 offset1:75
	v_add_f32_e32 v40, v34, v52
	v_fmac_f32_e32 v87, 0x3f737871, v7
	v_sub_f32_e32 v7, v36, v80
	v_sub_f32_e32 v8, v38, v79
	;; [unrolled: 1-line block ×4, first 2 shown]
	v_fma_f32 v40, -0.5, v40, v97
	v_add_f32_e32 v36, v36, v38
	v_add_f32_e32 v38, v97, v31
	v_mov_b32_e32 v42, v40
	v_add_f32_e32 v38, v38, v34
	v_fmac_f32_e32 v42, 0xbf737871, v7
	v_fmac_f32_e32 v87, 0x3f167918, v85
	v_add_f32_e32 v38, v38, v52
	v_fmac_f32_e32 v42, 0xbf167918, v8
	v_fmac_f32_e32 v87, 0x3e9e377a, v86
	v_add_f32_e32 v38, v38, v76
	v_fmac_f32_e32 v42, 0x3e9e377a, v36
	ds_write_b32 v88, v87 offset:400
	ds_write2_b32 v5, v38, v42 offset1:25
	v_add_f32_e32 v38, v31, v76
	v_fmac_f32_e32 v97, -0.5, v38
	v_sub_f32_e32 v31, v34, v31
	v_sub_f32_e32 v34, v52, v76
	v_add_f32_e32 v31, v31, v34
	v_mov_b32_e32 v34, v97
	v_fmac_f32_e32 v34, 0x3f737871, v8
	v_fmac_f32_e32 v97, 0xbf737871, v8
	;; [unrolled: 1-line block ×9, first 2 shown]
	ds_write2_b32 v5, v34, v97 offset0:50 offset1:75
	ds_write_b32 v5, v40 offset:400
	v_sub_f32_e32 v5, v30, v44
	v_add_f32_e32 v30, v24, v41
	v_sub_f32_e32 v7, v27, v46
	v_sub_f32_e32 v8, v25, v24
	;; [unrolled: 1-line block ×3, first 2 shown]
	v_fma_f32 v30, -0.5, v30, v98
	v_add_f32_e32 v8, v8, v27
	v_add_f32_e32 v27, v98, v25
	v_mov_b32_e32 v31, v30
	v_add_f32_e32 v27, v27, v24
	v_fmac_f32_e32 v31, 0xbf737871, v5
	v_add_f32_e32 v27, v27, v41
	v_fmac_f32_e32 v31, 0xbf167918, v7
	;; [unrolled: 2-line block ×3, first 2 shown]
	ds_write2_b32 v48, v27, v31 offset1:25
	v_add_f32_e32 v27, v25, v39
	v_fmac_f32_e32 v98, -0.5, v27
	v_sub_f32_e32 v24, v24, v25
	v_sub_f32_e32 v25, v41, v39
	v_add_f32_e32 v24, v24, v25
	v_mov_b32_e32 v25, v98
	v_fmac_f32_e32 v30, 0x3f737871, v5
	v_fmac_f32_e32 v25, 0x3f737871, v7
	;; [unrolled: 1-line block ×4, first 2 shown]
	v_sub_f32_e32 v7, v21, v35
	v_add_f32_e32 v21, v18, v29
	v_fmac_f32_e32 v25, 0xbf167918, v5
	v_fmac_f32_e32 v98, 0x3f167918, v5
	;; [unrolled: 1-line block ×3, first 2 shown]
	v_sub_f32_e32 v5, v19, v37
	v_sub_f32_e32 v8, v17, v18
	v_sub_f32_e32 v19, v32, v29
	v_fma_f32 v21, -0.5, v21, v99
	v_fmac_f32_e32 v25, 0x3e9e377a, v24
	v_fmac_f32_e32 v98, 0x3e9e377a, v24
	v_add_f32_e32 v8, v8, v19
	v_add_f32_e32 v19, v99, v17
	v_mov_b32_e32 v24, v21
	v_add_f32_e32 v19, v19, v18
	v_fmac_f32_e32 v24, 0xbf737871, v5
	v_add_f32_e32 v19, v19, v29
	v_fmac_f32_e32 v24, 0xbf167918, v7
	;; [unrolled: 2-line block ×3, first 2 shown]
	ds_write2_b32 v48, v25, v98 offset0:50 offset1:75
	ds_write_b32 v48, v30 offset:400
	ds_write2_b32 v50, v19, v24 offset1:25
	v_add_f32_e32 v19, v17, v32
	v_fmac_f32_e32 v99, -0.5, v19
	v_sub_f32_e32 v17, v18, v17
	v_sub_f32_e32 v18, v29, v32
	v_add_f32_e32 v17, v17, v18
	v_mov_b32_e32 v18, v99
	v_fmac_f32_e32 v21, 0x3f737871, v5
	v_fmac_f32_e32 v18, 0x3f737871, v7
	;; [unrolled: 1-line block ×7, first 2 shown]
	v_sub_f32_e32 v5, v15, v28
	v_sub_f32_e32 v8, v6, v14
	;; [unrolled: 1-line block ×3, first 2 shown]
	v_add_f32_e32 v8, v8, v15
	v_add_f32_e32 v15, v14, v20
	v_fma_f32 v15, -0.5, v15, v100
	v_sub_f32_e32 v7, v16, v26
	v_mov_b32_e32 v16, v15
	v_fmac_f32_e32 v16, 0xbf737871, v5
	v_fmac_f32_e32 v15, 0x3f737871, v5
	;; [unrolled: 1-line block ×8, first 2 shown]
	v_add_f32_e32 v8, v100, v6
	v_add_f32_e32 v17, v6, v22
	v_fmac_f32_e32 v100, -0.5, v17
	v_add_f32_e32 v8, v8, v14
	v_sub_f32_e32 v6, v14, v6
	v_sub_f32_e32 v14, v20, v22
	v_add_f32_e32 v6, v6, v14
	v_mov_b32_e32 v14, v100
	v_add_f32_e32 v8, v8, v20
	v_fmac_f32_e32 v14, 0x3f737871, v7
	v_fmac_f32_e32 v100, 0xbf737871, v7
	v_add_f32_e32 v8, v8, v22
	v_fmac_f32_e32 v14, 0xbf167918, v5
	v_fmac_f32_e32 v100, 0x3f167918, v5
	ds_write2_b32 v50, v18, v99 offset0:50 offset1:75
	ds_write_b32 v50, v21 offset:400
	v_fmac_f32_e32 v14, 0x3e9e377a, v6
	v_fmac_f32_e32 v100, 0x3e9e377a, v6
	ds_write2_b32 v54, v8, v16 offset1:25
	ds_write2_b32 v54, v14, v100 offset0:50 offset1:75
	ds_write_b32 v54, v15 offset:400
	v_lshlrev_b32_e32 v7, 2, v57
	v_mov_b32_e32 v8, 0
	v_lshlrev_b64 v[5:6], 3, v[7:8]
	v_mov_b32_e32 v7, s13
	v_add_co_u32_e64 v5, s[0:1], s12, v5
	v_addc_co_u32_e64 v6, s[0:1], v7, v6, s[0:1]
	s_movk_i32 s0, 0x625
	v_mul_u32_u24_sdwa v7, v59, s0 dst_sel:DWORD dst_unused:UNUSED_PAD src0_sel:WORD_0 src1_sel:DWORD
	v_sub_u16_sdwa v14, v59, v7 dst_sel:DWORD dst_unused:UNUSED_PAD src0_sel:DWORD src1_sel:WORD_1
	v_lshrrev_b16_e32 v14, 1, v14
	s_waitcnt lgkmcnt(0)
	s_barrier
	global_load_dwordx4 v[24:27], v[5:6], off offset:960
	v_add_u16_sdwa v7, v14, v7 dst_sel:DWORD dst_unused:UNUSED_PAD src0_sel:DWORD src1_sel:WORD_1
	v_mul_u32_u24_sdwa v14, v60, s0 dst_sel:DWORD dst_unused:UNUSED_PAD src0_sel:WORD_0 src1_sel:DWORD
	v_sub_u16_sdwa v15, v60, v14 dst_sel:DWORD dst_unused:UNUSED_PAD src0_sel:DWORD src1_sel:WORD_1
	v_lshrrev_b16_e32 v15, 1, v15
	v_lshrrev_b16_e32 v7, 6, v7
	v_add_u16_sdwa v14, v15, v14 dst_sel:DWORD dst_unused:UNUSED_PAD src0_sel:DWORD src1_sel:WORD_1
	v_mul_lo_u16_e32 v7, 0x7d, v7
	v_lshrrev_b16_e32 v14, 6, v14
	v_sub_u16_e32 v17, v59, v7
	v_mul_lo_u16_e32 v14, 0x7d, v14
	v_lshlrev_b32_e32 v7, 5, v17
	v_sub_u16_e32 v19, v60, v14
	global_load_dwordx4 v[28:31], v7, s[12:13] offset:960
	v_lshlrev_b32_e32 v14, 5, v19
	global_load_dwordx4 v[34:37], v14, s[12:13] offset:960
	v_mul_u32_u24_sdwa v15, v61, s0 dst_sel:DWORD dst_unused:UNUSED_PAD src0_sel:WORD_0 src1_sel:DWORD
	v_sub_u16_sdwa v16, v61, v15 dst_sel:DWORD dst_unused:UNUSED_PAD src0_sel:DWORD src1_sel:WORD_1
	v_lshrrev_b16_e32 v16, 1, v16
	v_add_u16_sdwa v15, v16, v15 dst_sel:DWORD dst_unused:UNUSED_PAD src0_sel:DWORD src1_sel:WORD_1
	v_lshrrev_b16_e32 v15, 6, v15
	v_mul_lo_u16_e32 v15, 0x7d, v15
	v_sub_u16_e32 v18, v61, v15
	v_lshlrev_b32_e32 v16, 5, v18
	global_load_dwordx4 v[88:91], v16, s[12:13] offset:960
	global_load_dwordx4 v[97:100], v[5:6], off offset:976
	global_load_dwordx4 v[101:104], v7, s[12:13] offset:976
	global_load_dwordx4 v[105:108], v14, s[12:13] offset:976
	;; [unrolled: 1-line block ×3, first 2 shown]
	ds_read2_b32 v[14:15], v62 offset0:113 offset1:238
	ds_read2_b32 v[123:124], v66 offset0:101 offset1:226
	s_movk_i32 s0, 0x1000
	s_waitcnt vmcnt(7) lgkmcnt(1)
	v_mul_f32_e32 v7, v14, v25
	v_mul_f32_e32 v87, v74, v25
	;; [unrolled: 1-line block ×3, first 2 shown]
	v_fma_f32 v20, v74, v24, -v7
	v_mul_f32_e32 v7, v15, v25
	v_fmac_f32_e32 v87, v14, v24
	v_fmac_f32_e32 v80, v15, v24
	ds_read2_b32 v[14:15], v51 offset0:95 offset1:220
	v_fma_f32 v81, v75, v24, -v7
	ds_read2_b32 v[24:25], v64 offset0:107 offset1:232
	s_waitcnt lgkmcnt(2)
	v_mul_f32_e32 v7, v124, v27
	v_fma_f32 v21, v78, v26, -v7
	s_waitcnt lgkmcnt(1)
	v_mul_f32_e32 v7, v14, v27
	v_mul_f32_e32 v42, v78, v27
	v_fma_f32 v85, v92, v26, -v7
	v_mul_f32_e32 v82, v92, v27
	s_waitcnt vmcnt(6)
	v_mul_f32_e32 v7, v15, v31
	v_fmac_f32_e32 v42, v124, v26
	v_fmac_f32_e32 v82, v14, v26
	v_fma_f32 v48, v93, v30, -v7
	s_waitcnt lgkmcnt(0)
	v_mul_f32_e32 v7, v24, v29
	v_mul_f32_e32 v41, v94, v29
	ds_read2_b32 v[26:27], v70 offset0:89 offset1:214
	s_waitcnt vmcnt(5)
	v_mul_f32_e32 v16, v95, v35
	v_fma_f32 v76, v94, v28, -v7
	v_fmac_f32_e32 v41, v24, v28
	v_mul_f32_e32 v7, v25, v35
	v_fmac_f32_e32 v16, v25, v34
	ds_read2_b32 v[24:25], v56 offset0:83 offset1:208
	v_mul_f32_e32 v35, v119, v37
	s_waitcnt vmcnt(4) lgkmcnt(1)
	v_mul_f32_e32 v14, v27, v91
	v_fma_f32 v38, v95, v34, -v7
	v_mul_f32_e32 v7, v26, v37
	v_fmac_f32_e32 v35, v26, v36
	v_fma_f32 v34, v120, v90, -v14
	v_mul_f32_e32 v14, v120, v91
	s_waitcnt vmcnt(3) lgkmcnt(0)
	v_mul_f32_e32 v26, v25, v98
	v_fmac_f32_e32 v14, v27, v90
	v_fma_f32 v95, v84, v97, -v26
	ds_read2_b32 v[26:27], v43 offset0:71 offset1:196
	ds_read2_b32 v[28:29], v49 offset0:65 offset1:190
	v_mul_f32_e32 v39, v93, v31
	v_fma_f32 v40, v119, v36, -v7
	v_mul_f32_e32 v7, v123, v89
	v_fmac_f32_e32 v39, v15, v30
	v_fma_f32 v15, v77, v88, -v7
	v_mul_f32_e32 v7, v77, v89
	v_mul_f32_e32 v89, v83, v98
	;; [unrolled: 1-line block ×6, first 2 shown]
	v_fmac_f32_e32 v89, v24, v97
	v_fmac_f32_e32 v94, v25, v97
	s_waitcnt lgkmcnt(1)
	v_mul_f32_e32 v24, v27, v100
	v_fmac_f32_e32 v90, v27, v99
	s_waitcnt lgkmcnt(0)
	v_mul_f32_e32 v25, v28, v100
	v_fmac_f32_e32 v96, v28, v99
	ds_read2_b32 v[27:28], v63 offset0:77 offset1:202
	s_waitcnt vmcnt(2)
	v_mul_f32_e32 v84, v116, v104
	v_fma_f32 v98, v115, v99, -v25
	v_mul_f32_e32 v25, v29, v104
	v_fmac_f32_e32 v84, v29, v103
	ds_read2_b32 v[29:30], v67 offset0:59 offset1:184
	v_fma_f32 v92, v116, v103, -v25
	s_waitcnt lgkmcnt(1)
	v_mul_f32_e32 v25, v27, v102
	v_fma_f32 v93, v117, v101, -v25
	s_waitcnt vmcnt(1)
	v_mul_f32_e32 v25, v28, v106
	v_fma_f32 v22, v83, v97, -v22
	v_fma_f32 v83, v118, v105, -v25
	s_waitcnt lgkmcnt(0)
	v_mul_f32_e32 v25, v29, v108
	v_fmac_f32_e32 v7, v123, v88
	v_mul_f32_e32 v88, v117, v102
	v_fma_f32 v86, v121, v107, -v25
	s_waitcnt vmcnt(0)
	v_mul_f32_e32 v25, v26, v110
	v_fma_f32 v24, v114, v99, -v24
	v_fmac_f32_e32 v88, v27, v101
	v_fma_f32 v74, v113, v109, -v25
	v_mul_f32_e32 v36, v113, v110
	v_mul_f32_e32 v25, v30, v112
	v_add_f32_e32 v27, v21, v22
	v_mul_f32_e32 v77, v118, v106
	v_mul_f32_e32 v79, v121, v108
	v_fmac_f32_e32 v36, v26, v109
	v_fma_f32 v78, v122, v111, -v25
	v_sub_f32_e32 v25, v20, v21
	v_sub_f32_e32 v26, v24, v22
	v_fma_f32 v27, -0.5, v27, v13
	v_fmac_f32_e32 v77, v28, v105
	v_fmac_f32_e32 v79, v29, v107
	v_mul_f32_e32 v37, v122, v112
	v_add_f32_e32 v25, v25, v26
	v_add_f32_e32 v26, v13, v20
	v_sub_f32_e32 v28, v87, v90
	v_mov_b32_e32 v29, v27
	v_fmac_f32_e32 v37, v30, v111
	v_add_f32_e32 v26, v26, v21
	v_fmac_f32_e32 v29, 0x3f737871, v28
	v_sub_f32_e32 v30, v42, v89
	v_add_f32_e32 v26, v26, v22
	v_fmac_f32_e32 v29, 0x3f167918, v30
	v_add_f32_e32 v26, v26, v24
	v_fmac_f32_e32 v29, 0x3e9e377a, v25
	ds_read_b32 v100, v53
	ds_read_b32 v99, v23
	;; [unrolled: 1-line block ×5, first 2 shown]
	s_waitcnt lgkmcnt(0)
	s_barrier
	ds_write2_b32 v53, v26, v29 offset1:125
	v_add_f32_e32 v26, v20, v24
	v_fmac_f32_e32 v13, -0.5, v26
	v_sub_f32_e32 v26, v21, v20
	v_sub_f32_e32 v29, v22, v24
	v_add_f32_e32 v26, v26, v29
	v_mov_b32_e32 v29, v13
	v_fmac_f32_e32 v29, 0xbf737871, v30
	v_fmac_f32_e32 v13, 0x3f737871, v30
	;; [unrolled: 1-line block ×6, first 2 shown]
	v_add_u32_e32 v103, 0x200, v53
	ds_write2_b32 v103, v29, v13 offset0:122 offset1:247
	v_add_f32_e32 v13, v12, v81
	v_fmac_f32_e32 v27, 0xbf737871, v28
	v_add_f32_e32 v13, v13, v85
	v_fmac_f32_e32 v27, 0xbf167918, v30
	;; [unrolled: 2-line block ×3, first 2 shown]
	v_add_f32_e32 v13, v13, v98
	v_add_u32_e32 v104, 0x600, v53
	ds_write2_b32 v104, v27, v13 offset0:116 offset1:241
	v_sub_f32_e32 v13, v81, v85
	v_sub_f32_e32 v25, v98, v95
	v_add_f32_e32 v13, v13, v25
	v_add_f32_e32 v25, v85, v95
	;; [unrolled: 1-line block ×3, first 2 shown]
	v_fma_f32 v25, -0.5, v25, v12
	v_fmac_f32_e32 v12, -0.5, v26
	v_sub_f32_e32 v26, v85, v81
	v_sub_f32_e32 v27, v95, v98
	v_add_f32_e32 v26, v26, v27
	v_sub_f32_e32 v27, v80, v96
	v_mov_b32_e32 v28, v25
	v_sub_f32_e32 v29, v82, v94
	v_mov_b32_e32 v30, v12
	v_fmac_f32_e32 v28, 0x3f737871, v27
	v_fmac_f32_e32 v30, 0xbf737871, v29
	;; [unrolled: 1-line block ×12, first 2 shown]
	v_add_u32_e32 v13, 0xe00, v53
	v_add_f32_e32 v26, v48, v93
	v_add_u32_e32 v105, 0xa00, v53
	ds_write2_b32 v13, v12, v25 offset0:104 offset1:229
	v_sub_f32_e32 v12, v76, v48
	v_sub_f32_e32 v25, v92, v93
	v_fma_f32 v26, -0.5, v26, v11
	ds_write2_b32 v105, v28, v30 offset0:110 offset1:235
	v_add_f32_e32 v12, v12, v25
	v_add_f32_e32 v25, v11, v76
	v_sub_f32_e32 v27, v41, v84
	v_mov_b32_e32 v28, v26
	v_add_f32_e32 v25, v25, v48
	v_fmac_f32_e32 v28, 0x3f737871, v27
	v_sub_f32_e32 v29, v39, v88
	v_add_f32_e32 v25, v25, v93
	v_fmac_f32_e32 v28, 0x3f167918, v29
	v_lshl_add_u32 v106, v17, 2, 0
	v_add_f32_e32 v25, v25, v92
	v_fmac_f32_e32 v28, 0x3e9e377a, v12
	v_add_u32_e32 v107, 0x1200, v106
	v_add_f32_e32 v17, v76, v92
	ds_write2_b32 v107, v25, v28 offset0:98 offset1:223
	v_fmac_f32_e32 v11, -0.5, v17
	v_sub_f32_e32 v17, v48, v76
	v_sub_f32_e32 v25, v93, v92
	v_add_f32_e32 v17, v17, v25
	v_mov_b32_e32 v25, v11
	v_fmac_f32_e32 v25, 0xbf737871, v29
	v_fmac_f32_e32 v11, 0x3f737871, v29
	;; [unrolled: 1-line block ×6, first 2 shown]
	v_add_u32_e32 v108, 0x1600, v106
	ds_write2_b32 v108, v25, v11 offset0:92 offset1:217
	v_add_f32_e32 v25, v40, v83
	v_sub_f32_e32 v11, v38, v40
	v_sub_f32_e32 v17, v86, v83
	v_fma_f32 v25, -0.5, v25, v10
	v_add_f32_e32 v11, v11, v17
	v_add_f32_e32 v17, v10, v38
	v_sub_f32_e32 v28, v16, v79
	v_mov_b32_e32 v30, v25
	v_add_f32_e32 v17, v17, v40
	v_fmac_f32_e32 v30, 0x3f737871, v28
	v_sub_f32_e32 v31, v35, v77
	v_add_f32_e32 v17, v17, v83
	v_fmac_f32_e32 v30, 0x3f167918, v31
	v_lshl_add_u32 v109, v19, 2, 0
	v_add_f32_e32 v17, v17, v86
	v_fmac_f32_e32 v30, 0x3e9e377a, v11
	v_add_u32_e32 v110, 0x1c00, v109
	ds_write2_b32 v110, v17, v30 offset0:83 offset1:208
	v_add_f32_e32 v17, v38, v86
	v_fmac_f32_e32 v10, -0.5, v17
	v_sub_f32_e32 v17, v40, v38
	v_sub_f32_e32 v19, v83, v86
	v_add_f32_e32 v17, v17, v19
	v_mov_b32_e32 v19, v10
	v_fmac_f32_e32 v19, 0xbf737871, v31
	v_fmac_f32_e32 v10, 0x3f737871, v31
	;; [unrolled: 1-line block ×6, first 2 shown]
	v_add_u32_e32 v111, 0x2000, v109
	ds_write2_b32 v111, v19, v10 offset0:77 offset1:202
	v_add_f32_e32 v19, v34, v74
	v_sub_f32_e32 v10, v15, v34
	v_sub_f32_e32 v17, v78, v74
	v_fma_f32 v19, -0.5, v19, v9
	v_add_f32_e32 v10, v10, v17
	v_add_f32_e32 v17, v9, v15
	v_sub_f32_e32 v30, v7, v37
	v_mov_b32_e32 v32, v19
	v_add_f32_e32 v17, v17, v34
	v_fmac_f32_e32 v32, 0x3f737871, v30
	v_sub_f32_e32 v44, v14, v36
	v_add_f32_e32 v17, v17, v74
	v_fmac_f32_e32 v32, 0x3f167918, v44
	v_lshl_add_u32 v112, v18, 2, 0
	v_add_f32_e32 v17, v17, v78
	v_fmac_f32_e32 v32, 0x3e9e377a, v10
	v_add_u32_e32 v113, 0x2600, v112
	ds_write2_b32 v113, v17, v32 offset0:68 offset1:193
	v_add_f32_e32 v17, v15, v78
	v_fmac_f32_e32 v9, -0.5, v17
	v_sub_f32_e32 v17, v34, v15
	v_sub_f32_e32 v18, v74, v78
	v_add_f32_e32 v17, v17, v18
	v_mov_b32_e32 v18, v9
	v_fmac_f32_e32 v18, 0xbf737871, v44
	v_fmac_f32_e32 v9, 0x3f737871, v44
	;; [unrolled: 1-line block ×6, first 2 shown]
	v_add_f32_e32 v17, v42, v89
	v_fmac_f32_e32 v26, 0xbf737871, v27
	v_fmac_f32_e32 v25, 0xbf737871, v28
	v_fmac_f32_e32 v19, 0xbf737871, v30
	v_add_u32_e32 v114, 0x2a00, v112
	v_fma_f32 v116, -0.5, v17, v100
	v_add_f32_e32 v17, v87, v90
	v_fmac_f32_e32 v26, 0xbf167918, v29
	v_fmac_f32_e32 v25, 0xbf167918, v31
	;; [unrolled: 1-line block ×3, first 2 shown]
	ds_write2_b32 v114, v18, v9 offset0:62 offset1:187
	v_sub_f32_e32 v9, v20, v24
	v_add_f32_e32 v117, v100, v87
	v_fmac_f32_e32 v100, -0.5, v17
	v_fmac_f32_e32 v26, 0x3e9e377a, v12
	v_fmac_f32_e32 v25, 0x3e9e377a, v11
	;; [unrolled: 1-line block ×3, first 2 shown]
	v_sub_f32_e32 v10, v87, v42
	v_sub_f32_e32 v11, v90, v89
	v_add_f32_e32 v12, v99, v80
	v_sub_f32_e32 v115, v21, v22
	v_mov_b32_e32 v118, v100
	v_add_f32_e32 v10, v10, v11
	v_mov_b32_e32 v11, v116
	v_fmac_f32_e32 v116, 0x3f737871, v9
	v_add_f32_e32 v12, v12, v82
	v_sub_f32_e32 v17, v42, v87
	v_sub_f32_e32 v18, v89, v90
	v_fmac_f32_e32 v118, 0x3f737871, v115
	v_fmac_f32_e32 v100, 0xbf737871, v115
	;; [unrolled: 1-line block ×3, first 2 shown]
	v_add_f32_e32 v12, v12, v94
	v_add_f32_e32 v17, v17, v18
	v_fmac_f32_e32 v118, 0xbf167918, v9
	v_fmac_f32_e32 v100, 0x3f167918, v9
	;; [unrolled: 1-line block ×3, first 2 shown]
	v_add_f32_e32 v12, v12, v96
	v_fmac_f32_e32 v118, 0x3e9e377a, v17
	v_fmac_f32_e32 v100, 0x3e9e377a, v17
	ds_write_b32 v106, v26 offset:7000
	ds_write_b32 v109, v25 offset:9500
	;; [unrolled: 1-line block ×3, first 2 shown]
	s_waitcnt lgkmcnt(0)
	s_barrier
	ds_read_b32 v50, v45
	ds_read_b32 v101, v47
	;; [unrolled: 1-line block ×5, first 2 shown]
	ds_read2_b32 v[23:24], v62 offset0:113 offset1:238
	ds_read2_b32 v[19:20], v66 offset0:101 offset1:226
	;; [unrolled: 1-line block ×10, first 2 shown]
	s_waitcnt lgkmcnt(0)
	s_barrier
	ds_write2_b32 v104, v116, v12 offset0:116 offset1:241
	v_sub_f32_e32 v12, v81, v98
	v_sub_f32_e32 v73, v85, v95
	;; [unrolled: 1-line block ×4, first 2 shown]
	v_add_f32_e32 v81, v81, v85
	v_add_f32_e32 v85, v82, v94
	v_add_f32_e32 v87, v80, v96
	v_fma_f32 v85, -0.5, v85, v99
	v_fmac_f32_e32 v99, -0.5, v87
	v_sub_f32_e32 v80, v82, v80
	v_sub_f32_e32 v82, v94, v96
	v_mov_b32_e32 v87, v99
	v_add_f32_e32 v80, v80, v82
	v_mov_b32_e32 v82, v85
	v_fmac_f32_e32 v87, 0x3f737871, v73
	v_fmac_f32_e32 v85, 0x3f737871, v12
	;; [unrolled: 1-line block ×7, first 2 shown]
	v_add_f32_e32 v12, v117, v42
	v_fmac_f32_e32 v11, 0xbf737871, v9
	v_fmac_f32_e32 v85, 0x3e9e377a, v81
	;; [unrolled: 1-line block ×3, first 2 shown]
	v_add_f32_e32 v12, v12, v89
	v_fmac_f32_e32 v11, 0xbf167918, v115
	ds_write2_b32 v13, v99, v85 offset0:104 offset1:229
	v_add_f32_e32 v12, v12, v90
	v_fmac_f32_e32 v11, 0x3e9e377a, v10
	v_add_f32_e32 v13, v39, v88
	ds_write2_b32 v53, v12, v11 offset1:125
	v_sub_f32_e32 v11, v41, v39
	v_sub_f32_e32 v12, v84, v88
	v_fma_f32 v13, -0.5, v13, v97
	v_sub_f32_e32 v9, v76, v92
	v_add_f32_e32 v11, v11, v12
	v_add_f32_e32 v12, v97, v41
	v_mov_b32_e32 v42, v13
	v_sub_f32_e32 v10, v48, v93
	v_add_f32_e32 v12, v12, v39
	v_fmac_f32_e32 v42, 0xbf737871, v9
	v_fmac_f32_e32 v82, 0xbf167918, v73
	v_add_f32_e32 v12, v12, v88
	v_fmac_f32_e32 v42, 0xbf167918, v10
	v_fmac_f32_e32 v82, 0x3e9e377a, v81
	;; [unrolled: 1-line block ×3, first 2 shown]
	v_add_f32_e32 v12, v12, v84
	v_fmac_f32_e32 v42, 0x3e9e377a, v11
	ds_write2_b32 v103, v118, v100 offset0:122 offset1:247
	ds_write2_b32 v105, v82, v87 offset0:110 offset1:235
	;; [unrolled: 1-line block ×3, first 2 shown]
	v_add_f32_e32 v12, v41, v84
	v_fmac_f32_e32 v97, -0.5, v12
	v_sub_f32_e32 v12, v39, v41
	v_sub_f32_e32 v39, v88, v84
	v_add_f32_e32 v12, v12, v39
	v_mov_b32_e32 v39, v97
	v_fmac_f32_e32 v39, 0x3f737871, v10
	v_fmac_f32_e32 v97, 0xbf737871, v10
	;; [unrolled: 1-line block ×6, first 2 shown]
	v_add_f32_e32 v41, v35, v77
	ds_write2_b32 v108, v39, v97 offset0:92 offset1:217
	v_sub_f32_e32 v12, v38, v86
	v_sub_f32_e32 v38, v40, v83
	;; [unrolled: 1-line block ×4, first 2 shown]
	v_fma_f32 v41, -0.5, v41, v91
	v_add_f32_e32 v39, v39, v40
	v_add_f32_e32 v40, v91, v16
	v_mov_b32_e32 v42, v41
	v_add_f32_e32 v40, v40, v35
	v_fmac_f32_e32 v42, 0xbf737871, v12
	v_add_f32_e32 v40, v40, v77
	v_fmac_f32_e32 v42, 0xbf167918, v38
	;; [unrolled: 2-line block ×3, first 2 shown]
	ds_write2_b32 v110, v40, v42 offset0:83 offset1:208
	v_add_f32_e32 v40, v16, v79
	v_fmac_f32_e32 v91, -0.5, v40
	v_sub_f32_e32 v16, v35, v16
	v_sub_f32_e32 v35, v77, v79
	v_add_f32_e32 v16, v16, v35
	v_mov_b32_e32 v35, v91
	v_fmac_f32_e32 v35, 0x3f737871, v38
	v_fmac_f32_e32 v91, 0xbf737871, v38
	;; [unrolled: 1-line block ×6, first 2 shown]
	v_add_f32_e32 v40, v14, v36
	ds_write2_b32 v111, v35, v91 offset0:77 offset1:202
	v_sub_f32_e32 v16, v34, v74
	v_sub_f32_e32 v34, v7, v14
	;; [unrolled: 1-line block ×3, first 2 shown]
	v_fma_f32 v40, -0.5, v40, v75
	v_fmac_f32_e32 v13, 0x3f737871, v9
	v_add_f32_e32 v9, v7, v37
	v_sub_f32_e32 v15, v15, v78
	v_add_f32_e32 v34, v34, v35
	v_add_f32_e32 v35, v75, v7
	v_mov_b32_e32 v42, v40
	v_fmac_f32_e32 v75, -0.5, v9
	v_sub_f32_e32 v7, v14, v7
	v_sub_f32_e32 v9, v36, v37
	v_add_f32_e32 v35, v35, v14
	v_fmac_f32_e32 v42, 0xbf737871, v15
	v_fmac_f32_e32 v41, 0x3f737871, v12
	v_add_f32_e32 v7, v7, v9
	v_mov_b32_e32 v9, v75
	v_add_f32_e32 v35, v35, v36
	v_fmac_f32_e32 v42, 0xbf167918, v16
	v_fmac_f32_e32 v13, 0x3f167918, v10
	;; [unrolled: 1-line block ×6, first 2 shown]
	v_add_f32_e32 v35, v35, v37
	v_fmac_f32_e32 v42, 0x3e9e377a, v34
	v_fmac_f32_e32 v13, 0x3e9e377a, v11
	;; [unrolled: 1-line block ×6, first 2 shown]
	ds_write2_b32 v113, v35, v42 offset0:68 offset1:193
	ds_write_b32 v106, v13 offset:7000
	v_fmac_f32_e32 v40, 0x3e9e377a, v34
	v_fmac_f32_e32 v9, 0x3e9e377a, v7
	v_fmac_f32_e32 v75, 0x3e9e377a, v7
	ds_write_b32 v109, v41 offset:9500
	ds_write2_b32 v114, v9, v75 offset0:62 offset1:187
	ds_write_b32 v112, v40 offset:12000
	s_waitcnt lgkmcnt(0)
	s_barrier
	s_and_saveexec_b64 s[6:7], vcc
	s_cbranch_execz .LBB0_15
; %bb.14:
	v_lshlrev_b32_e32 v7, 2, v61
	v_lshlrev_b64 v[9:10], 3, v[7:8]
	v_mov_b32_e32 v73, s13
	v_add_co_u32_e32 v7, vcc, s12, v9
	v_addc_co_u32_e32 v14, vcc, v73, v10, vcc
	v_add_co_u32_e32 v9, vcc, s0, v7
	s_movk_i32 s1, 0x1360
	v_addc_co_u32_e32 v10, vcc, 0, v14, vcc
	v_add_co_u32_e32 v13, vcc, s1, v7
	v_addc_co_u32_e32 v14, vcc, 0, v14, vcc
	global_load_dwordx4 v[9:12], v[9:10], off offset:864
	v_sub_u32_e32 v61, 0, v68
	global_load_dwordx4 v[13:16], v[13:14], off offset:16
	v_sub_u32_e32 v7, 0, v72
	v_mul_lo_u32 v39, s5, v3
	v_mul_lo_u32 v68, s4, v4
	v_mad_u64_u32 v[35:36], s[4:5], s4, v3, 0
	v_add_u32_e32 v3, v65, v7
	v_lshlrev_b32_e32 v7, 2, v60
	v_add_u32_e32 v0, v0, v61
	ds_read2_b32 v[37:38], v70 offset0:89 offset1:214
	ds_read2_b32 v[40:41], v66 offset0:101 offset1:226
	;; [unrolled: 1-line block ×4, first 2 shown]
	ds_read_b32 v60, v3
	ds_read_b32 v53, v53
	;; [unrolled: 1-line block ×3, first 2 shown]
	v_lshlrev_b64 v[3:4], 3, v[7:8]
	v_add3_u32 v36, v36, v68, v39
	v_add_co_u32_e32 v7, vcc, s12, v3
	v_addc_co_u32_e32 v39, vcc, v73, v4, vcc
	v_add_co_u32_e32 v3, vcc, s0, v7
	v_addc_co_u32_e32 v4, vcc, 0, v39, vcc
	global_load_dwordx4 v[65:68], v[3:4], off offset:864
	v_add_co_u32_e32 v3, vcc, s1, v7
	v_addc_co_u32_e32 v4, vcc, 0, v39, vcc
	v_sub_u32_e32 v48, 0, v69
	v_sub_u32_e32 v34, 0, v71
	global_load_dwordx4 v[69:72], v[3:4], off offset:16
	ds_read2_b32 v[81:82], v63 offset0:77 offset1:202
	v_lshlrev_b64 v[35:36], 3, v[35:36]
	s_waitcnt vmcnt(3) lgkmcnt(6)
	v_mul_f32_e32 v7, v9, v40
	v_mul_f32_e32 v4, v10, v40
	s_waitcnt vmcnt(2) lgkmcnt(4)
	v_mul_f32_e32 v40, v15, v79
	v_mul_f32_e32 v3, v11, v38
	v_fmac_f32_e32 v7, v19, v10
	v_mul_f32_e32 v39, v13, v42
	v_fmac_f32_e32 v40, v28, v16
	;; [unrolled: 2-line block ×3, first 2 shown]
	v_fma_f32 v19, v19, v9, -v4
	v_mul_f32_e32 v4, v16, v79
	v_mul_f32_e32 v9, v14, v42
	v_fmac_f32_e32 v39, v21, v14
	v_add_f32_e32 v12, v7, v40
	v_fma_f32 v26, v26, v11, -v38
	v_sub_f32_e32 v10, v3, v7
	v_fma_f32 v15, v28, v15, -v4
	v_fma_f32 v21, v21, v13, -v9
	v_sub_f32_e32 v4, v7, v3
	v_sub_f32_e32 v11, v39, v40
	;; [unrolled: 1-line block ×3, first 2 shown]
	v_add_f32_e32 v28, v3, v39
	s_waitcnt lgkmcnt(3)
	v_fma_f32 v12, -0.5, v12, v60
	v_add_f32_e32 v9, v7, v60
	v_sub_f32_e32 v16, v26, v21
	v_add_f32_e32 v11, v10, v11
	v_add_f32_e32 v38, v4, v14
	v_fma_f32 v14, -0.5, v28, v60
	v_mov_b32_e32 v10, v12
	v_sub_f32_e32 v13, v19, v15
	v_add_f32_e32 v9, v3, v9
	v_fmac_f32_e32 v12, 0x3f737871, v16
	v_mov_b32_e32 v4, v14
	v_fmac_f32_e32 v10, 0xbf737871, v16
	v_fmac_f32_e32 v14, 0xbf737871, v13
	;; [unrolled: 1-line block ×5, first 2 shown]
	v_add_f32_e32 v9, v39, v9
	v_fmac_f32_e32 v14, 0xbf167918, v16
	v_fmac_f32_e32 v12, 0x3e9e377a, v11
	;; [unrolled: 1-line block ×4, first 2 shown]
	v_add_f32_e32 v16, v40, v9
	v_sub_f32_e32 v9, v26, v19
	v_sub_f32_e32 v11, v21, v15
	v_add_f32_e32 v13, v9, v11
	v_add_f32_e32 v9, v19, v15
	v_fma_f32 v11, -0.5, v9, v102
	v_sub_f32_e32 v28, v3, v39
	v_mov_b32_e32 v9, v11
	v_fmac_f32_e32 v9, 0x3f737871, v28
	v_sub_f32_e32 v7, v7, v40
	v_fmac_f32_e32 v11, 0xbf737871, v28
	v_fmac_f32_e32 v9, 0xbf167918, v7
	;; [unrolled: 1-line block ×5, first 2 shown]
	v_sub_f32_e32 v3, v19, v26
	v_sub_f32_e32 v13, v15, v21
	v_fmac_f32_e32 v14, 0x3e9e377a, v38
	v_fmac_f32_e32 v4, 0x3e9e377a, v38
	v_add_f32_e32 v38, v3, v13
	v_add_f32_e32 v3, v26, v21
	v_fma_f32 v13, -0.5, v3, v102
	v_mov_b32_e32 v3, v13
	v_fmac_f32_e32 v3, 0xbf737871, v7
	v_fmac_f32_e32 v13, 0x3f737871, v7
	v_add_f32_e32 v7, v102, v19
	v_add_f32_e32 v7, v26, v7
	;; [unrolled: 1-line block ×3, first 2 shown]
	v_fmac_f32_e32 v3, 0xbf167918, v28
	v_fmac_f32_e32 v13, 0x3f167918, v28
	v_add_f32_e32 v15, v7, v15
	v_lshlrev_b32_e32 v7, 2, v59
	v_fmac_f32_e32 v3, 0x3e9e377a, v38
	v_fmac_f32_e32 v13, 0x3e9e377a, v38
	v_lshlrev_b64 v[38:39], 3, v[7:8]
	ds_read2_b32 v[79:80], v64 offset0:107 offset1:232
	v_add_co_u32_e32 v7, vcc, s12, v38
	v_addc_co_u32_e32 v28, vcc, v73, v39, vcc
	v_add_co_u32_e32 v38, vcc, s0, v7
	v_addc_co_u32_e32 v39, vcc, 0, v28, vcc
	s_waitcnt vmcnt(1)
	v_mul_f32_e32 v19, v67, v37
	s_waitcnt lgkmcnt(0)
	v_mul_f32_e32 v21, v65, v80
	global_load_dwordx4 v[74:77], v[38:39], off offset:864
	s_waitcnt vmcnt(1)
	v_mul_f32_e32 v39, v69, v82
	v_mul_f32_e32 v42, v71, v78
	v_fmac_f32_e32 v19, v25, v68
	v_fmac_f32_e32 v21, v47, v66
	;; [unrolled: 1-line block ×4, first 2 shown]
	v_sub_f32_e32 v26, v19, v21
	v_sub_f32_e32 v38, v39, v42
	v_add_f32_e32 v38, v26, v38
	v_mul_f32_e32 v26, v66, v80
	v_fma_f32 v47, v47, v65, -v26
	v_mul_f32_e32 v26, v72, v78
	v_fma_f32 v71, v27, v71, -v26
	v_add_u32_e32 v26, v33, v34
	ds_read_b32 v33, v26
	v_add_co_u32_e32 v26, vcc, s1, v7
	v_addc_co_u32_e32 v27, vcc, 0, v28, vcc
	global_load_dwordx4 v[63:66], v[26:27], off offset:16
	v_add_f32_e32 v26, v21, v42
	s_waitcnt lgkmcnt(0)
	v_fma_f32 v34, -0.5, v26, v33
	v_mul_f32_e32 v26, v68, v37
	v_fma_f32 v67, v25, v67, -v26
	v_mul_f32_e32 v25, v70, v82
	v_fma_f32 v45, v45, v69, -v25
	v_sub_f32_e32 v25, v67, v45
	v_mov_b32_e32 v26, v34
	v_sub_f32_e32 v7, v47, v71
	v_fmac_f32_e32 v26, 0xbf737871, v25
	v_fmac_f32_e32 v34, 0x3f737871, v25
	v_sub_f32_e32 v27, v21, v19
	v_sub_f32_e32 v28, v42, v39
	v_fmac_f32_e32 v26, 0x3f167918, v7
	v_fmac_f32_e32 v34, 0xbf167918, v7
	v_add_f32_e32 v27, v27, v28
	v_add_f32_e32 v28, v19, v39
	v_fmac_f32_e32 v26, 0x3e9e377a, v38
	v_fmac_f32_e32 v34, 0x3e9e377a, v38
	v_fma_f32 v38, -0.5, v28, v33
	v_mov_b32_e32 v28, v38
	v_fmac_f32_e32 v28, 0x3f737871, v7
	v_fmac_f32_e32 v38, 0xbf737871, v7
	v_add_f32_e32 v7, v21, v33
	v_add_f32_e32 v7, v19, v7
	;; [unrolled: 1-line block ×3, first 2 shown]
	v_fmac_f32_e32 v28, 0x3f167918, v25
	v_fmac_f32_e32 v38, 0xbf167918, v25
	v_add_f32_e32 v40, v42, v7
	v_sub_f32_e32 v7, v67, v47
	v_sub_f32_e32 v25, v45, v71
	v_add_f32_e32 v7, v7, v25
	v_add_f32_e32 v25, v47, v71
	v_fma_f32 v33, -0.5, v25, v101
	v_sub_f32_e32 v19, v19, v39
	v_mov_b32_e32 v25, v33
	v_fmac_f32_e32 v25, 0x3f737871, v19
	v_sub_f32_e32 v21, v21, v42
	v_fmac_f32_e32 v33, 0xbf737871, v19
	v_fmac_f32_e32 v25, 0xbf167918, v21
	;; [unrolled: 1-line block ×7, first 2 shown]
	v_sub_f32_e32 v7, v47, v67
	v_sub_f32_e32 v27, v71, v45
	v_add_f32_e32 v7, v7, v27
	v_add_f32_e32 v27, v67, v45
	v_fma_f32 v37, -0.5, v27, v101
	v_mov_b32_e32 v27, v37
	v_fmac_f32_e32 v27, 0xbf737871, v21
	v_fmac_f32_e32 v37, 0x3f737871, v21
	;; [unrolled: 1-line block ×6, first 2 shown]
	v_add_f32_e32 v7, v101, v47
	v_add_f32_e32 v7, v67, v7
	;; [unrolled: 1-line block ×3, first 2 shown]
	ds_read2_b32 v[59:60], v51 offset0:95 offset1:220
	v_add_f32_e32 v39, v7, v71
	ds_read2_b32 v[82:83], v49 offset0:65 offset1:190
	v_lshlrev_b32_e32 v7, 2, v58
	v_lshlrev_b64 v[7:8], 3, v[7:8]
	s_waitcnt vmcnt(1) lgkmcnt(1)
	v_mul_f32_e32 v19, v76, v60
	v_add_co_u32_e32 v45, vcc, s12, v7
	v_addc_co_u32_e32 v47, vcc, v73, v8, vcc
	v_mul_f32_e32 v21, v74, v79
	v_add_co_u32_e32 v7, vcc, s0, v45
	v_fmac_f32_e32 v19, v30, v77
	v_fmac_f32_e32 v21, v46, v75
	v_addc_co_u32_e32 v8, vcc, 0, v47, vcc
	v_sub_f32_e32 v42, v19, v21
	global_load_dwordx4 v[67:70], v[7:8], off offset:864
	s_waitcnt vmcnt(1)
	v_mul_f32_e32 v58, v63, v81
	s_waitcnt lgkmcnt(0)
	v_mul_f32_e32 v78, v65, v83
	v_fmac_f32_e32 v58, v44, v64
	v_fmac_f32_e32 v78, v32, v66
	v_sub_f32_e32 v7, v58, v78
	v_add_f32_e32 v42, v42, v7
	v_mul_f32_e32 v7, v75, v79
	v_fma_f32 v75, v46, v74, -v7
	v_add_u32_e32 v7, v55, v48
	ds_read_b32 v48, v7
	v_add_co_u32_e32 v7, vcc, s1, v45
	v_addc_co_u32_e32 v8, vcc, 0, v47, vcc
	global_load_dwordx4 v[71:74], v[7:8], off offset:16
	v_add_f32_e32 v8, v21, v78
	s_waitcnt lgkmcnt(0)
	v_fma_f32 v47, -0.5, v8, v48
	v_mul_f32_e32 v8, v77, v60
	v_fma_f32 v30, v30, v76, -v8
	v_mul_f32_e32 v8, v64, v81
	v_mul_f32_e32 v46, v66, v83
	v_fma_f32 v55, v44, v63, -v8
	v_fma_f32 v32, v32, v65, -v46
	v_sub_f32_e32 v44, v30, v55
	v_mov_b32_e32 v45, v47
	v_sub_f32_e32 v7, v75, v32
	v_fmac_f32_e32 v45, 0xbf737871, v44
	v_fmac_f32_e32 v47, 0x3f737871, v44
	;; [unrolled: 1-line block ×6, first 2 shown]
	v_sub_f32_e32 v8, v21, v19
	v_sub_f32_e32 v42, v78, v58
	v_add_f32_e32 v42, v8, v42
	v_add_f32_e32 v8, v19, v58
	v_fma_f32 v49, -0.5, v8, v48
	v_mov_b32_e32 v8, v49
	v_fmac_f32_e32 v8, 0x3f737871, v7
	v_fmac_f32_e32 v49, 0xbf737871, v7
	v_add_f32_e32 v7, v21, v48
	v_add_f32_e32 v7, v19, v7
	v_fmac_f32_e32 v8, 0x3f167918, v44
	v_fmac_f32_e32 v49, 0xbf167918, v44
	v_add_f32_e32 v7, v58, v7
	v_fmac_f32_e32 v8, 0x3e9e377a, v42
	v_fmac_f32_e32 v49, 0x3e9e377a, v42
	v_add_f32_e32 v51, v78, v7
	v_sub_f32_e32 v7, v30, v75
	v_sub_f32_e32 v42, v55, v32
	v_add_f32_e32 v7, v7, v42
	v_add_f32_e32 v42, v75, v32
	v_fma_f32 v46, -0.5, v42, v50
	v_sub_f32_e32 v19, v19, v58
	v_mov_b32_e32 v44, v46
	v_fmac_f32_e32 v44, 0x3f737871, v19
	v_sub_f32_e32 v21, v21, v78
	v_fmac_f32_e32 v46, 0xbf737871, v19
	v_fmac_f32_e32 v44, 0xbf167918, v21
	v_fmac_f32_e32 v46, 0x3f167918, v21
	v_fmac_f32_e32 v44, 0x3e9e377a, v7
	v_fmac_f32_e32 v46, 0x3e9e377a, v7
	v_sub_f32_e32 v7, v75, v30
	v_sub_f32_e32 v42, v32, v55
	v_add_f32_e32 v42, v7, v42
	v_add_f32_e32 v7, v30, v55
	ds_read2_b32 v[79:80], v62 offset0:113 offset1:238
	v_add_co_u32_e32 v62, vcc, s0, v5
	v_fma_f32 v48, -0.5, v7, v50
	v_addc_co_u32_e32 v63, vcc, 0, v6, vcc
	v_mov_b32_e32 v7, v48
	v_add_co_u32_e32 v5, vcc, s1, v5
	v_fmac_f32_e32 v7, 0xbf737871, v21
	v_fmac_f32_e32 v48, 0x3f737871, v21
	v_addc_co_u32_e32 v6, vcc, 0, v6, vcc
	v_fmac_f32_e32 v7, 0xbf167918, v19
	v_fmac_f32_e32 v48, 0x3f167918, v19
	v_add_f32_e32 v19, v50, v75
	global_load_dwordx4 v[62:65], v[62:63], off offset:864
	v_add_f32_e32 v19, v30, v19
	global_load_dwordx4 v[75:78], v[5:6], off offset:16
	v_add_f32_e32 v19, v19, v55
	ds_read2_b32 v[55:56], v56 offset0:83 offset1:208
	v_fmac_f32_e32 v7, 0x3e9e377a, v42
	v_fmac_f32_e32 v48, 0x3e9e377a, v42
	s_waitcnt vmcnt(3)
	v_mul_f32_e32 v21, v69, v59
	s_waitcnt lgkmcnt(1)
	v_mul_f32_e32 v42, v67, v80
	v_fmac_f32_e32 v21, v29, v70
	v_fmac_f32_e32 v42, v24, v68
	v_sub_f32_e32 v5, v21, v42
	s_waitcnt vmcnt(2) lgkmcnt(0)
	v_mul_f32_e32 v58, v71, v56
	v_mul_f32_e32 v60, v73, v82
	v_fmac_f32_e32 v58, v18, v72
	v_fmac_f32_e32 v60, v31, v74
	v_sub_f32_e32 v6, v58, v60
	v_add_f32_e32 v5, v5, v6
	v_mul_f32_e32 v6, v68, v80
	v_add_f32_e32 v50, v19, v32
	v_fma_f32 v24, v24, v67, -v6
	v_mul_f32_e32 v6, v74, v82
	v_mul_f32_e32 v19, v70, v59
	v_fma_f32 v61, v31, v73, -v6
	v_add_f32_e32 v6, v42, v60
	v_fma_f32 v66, v29, v69, -v19
	v_mul_f32_e32 v19, v72, v56
	v_fma_f32 v6, -0.5, v6, v0
	v_fma_f32 v56, v18, v71, -v19
	v_sub_f32_e32 v18, v66, v56
	v_mov_b32_e32 v19, v6
	v_sub_f32_e32 v31, v24, v61
	v_fmac_f32_e32 v19, 0xbf737871, v18
	v_fmac_f32_e32 v6, 0x3f737871, v18
	;; [unrolled: 1-line block ×6, first 2 shown]
	v_sub_f32_e32 v5, v42, v21
	v_sub_f32_e32 v29, v60, v58
	v_add_f32_e32 v5, v5, v29
	v_add_f32_e32 v29, v21, v58
	v_fma_f32 v30, -0.5, v29, v0
	v_mov_b32_e32 v32, v30
	v_add_f32_e32 v0, v42, v0
	v_fmac_f32_e32 v32, 0x3f737871, v31
	v_fmac_f32_e32 v30, 0xbf737871, v31
	v_add_f32_e32 v0, v21, v0
	v_fmac_f32_e32 v32, 0x3f167918, v18
	v_fmac_f32_e32 v30, 0xbf167918, v18
	;; [unrolled: 3-line block ×3, first 2 shown]
	v_add_f32_e32 v59, v60, v0
	v_sub_f32_e32 v0, v66, v24
	v_sub_f32_e32 v5, v56, v61
	v_add_f32_e32 v0, v0, v5
	v_add_f32_e32 v5, v24, v61
	v_fma_f32 v5, -0.5, v5, v54
	v_sub_f32_e32 v21, v21, v58
	v_mov_b32_e32 v18, v5
	v_fmac_f32_e32 v18, 0x3f737871, v21
	v_sub_f32_e32 v42, v42, v60
	v_fmac_f32_e32 v5, 0xbf737871, v21
	v_fmac_f32_e32 v18, 0xbf167918, v42
	;; [unrolled: 1-line block ×5, first 2 shown]
	v_sub_f32_e32 v0, v24, v66
	v_sub_f32_e32 v29, v61, v56
	v_add_f32_e32 v0, v0, v29
	v_add_f32_e32 v29, v66, v56
	v_fma_f32 v29, -0.5, v29, v54
	v_mov_b32_e32 v31, v29
	v_fmac_f32_e32 v31, 0xbf737871, v42
	v_fmac_f32_e32 v29, 0x3f737871, v42
	;; [unrolled: 1-line block ×6, first 2 shown]
	v_add_f32_e32 v0, v54, v24
	v_add_f32_e32 v0, v66, v0
	;; [unrolled: 1-line block ×4, first 2 shown]
	s_waitcnt vmcnt(1)
	v_mul_f32_e32 v0, v64, v41
	v_mul_f32_e32 v24, v62, v79
	s_waitcnt vmcnt(0)
	v_mul_f32_e32 v60, v75, v55
	v_mul_f32_e32 v61, v77, v43
	v_fmac_f32_e32 v0, v20, v65
	v_fmac_f32_e32 v24, v23, v63
	;; [unrolled: 1-line block ×4, first 2 shown]
	v_sub_f32_e32 v21, v0, v24
	v_sub_f32_e32 v42, v60, v61
	v_add_f32_e32 v42, v21, v42
	v_mul_f32_e32 v21, v63, v79
	v_fma_f32 v62, v23, v62, -v21
	v_mul_f32_e32 v21, v78, v43
	v_mul_f32_e32 v23, v65, v41
	v_fma_f32 v43, v22, v77, -v21
	v_add_f32_e32 v21, v24, v61
	v_fma_f32 v63, v20, v64, -v23
	v_mul_f32_e32 v20, v76, v55
	v_fma_f32 v21, -0.5, v21, v53
	v_fma_f32 v17, v17, v75, -v20
	v_sub_f32_e32 v20, v63, v17
	v_mov_b32_e32 v23, v21
	v_sub_f32_e32 v22, v62, v43
	v_fmac_f32_e32 v23, 0xbf737871, v20
	v_fmac_f32_e32 v21, 0x3f737871, v20
	;; [unrolled: 1-line block ×6, first 2 shown]
	v_sub_f32_e32 v41, v24, v0
	v_sub_f32_e32 v42, v61, v60
	v_add_f32_e32 v41, v41, v42
	v_add_f32_e32 v42, v0, v60
	v_fma_f32 v42, -0.5, v42, v53
	v_mov_b32_e32 v54, v42
	v_fmac_f32_e32 v54, 0x3f737871, v22
	v_fmac_f32_e32 v42, 0xbf737871, v22
	;; [unrolled: 1-line block ×4, first 2 shown]
	v_add_f32_e32 v20, v24, v53
	v_add_f32_e32 v20, v0, v20
	;; [unrolled: 1-line block ×4, first 2 shown]
	v_sub_f32_e32 v20, v63, v62
	v_sub_f32_e32 v22, v17, v43
	v_fmac_f32_e32 v54, 0x3e9e377a, v41
	v_fmac_f32_e32 v42, 0x3e9e377a, v41
	v_add_f32_e32 v41, v20, v22
	v_add_f32_e32 v20, v62, v43
	v_fma_f32 v20, -0.5, v20, v52
	v_sub_f32_e32 v0, v0, v60
	v_mov_b32_e32 v22, v20
	v_fmac_f32_e32 v22, 0x3f737871, v0
	v_sub_f32_e32 v24, v24, v61
	v_fmac_f32_e32 v20, 0xbf737871, v0
	v_fmac_f32_e32 v22, 0xbf167918, v24
	;; [unrolled: 1-line block ×3, first 2 shown]
	s_mov_b32 s0, 0xd1b71759
	v_fmac_f32_e32 v22, 0x3e9e377a, v41
	v_fmac_f32_e32 v20, 0x3e9e377a, v41
	v_sub_f32_e32 v41, v62, v63
	v_sub_f32_e32 v53, v43, v17
	v_mul_hi_u32 v60, v57, s0
	v_add_f32_e32 v55, v41, v53
	v_add_f32_e32 v41, v63, v17
	v_fma_f32 v41, -0.5, v41, v52
	v_mov_b32_e32 v53, v41
	v_fmac_f32_e32 v53, 0xbf737871, v24
	v_fmac_f32_e32 v41, 0x3f737871, v24
	v_lshrrev_b32_e32 v24, 9, v60
	v_mul_u32_u24_e32 v24, 0x271, v24
	v_sub_u32_e32 v24, v57, v24
	v_mad_u64_u32 v[60:61], s[4:5], s2, v24, 0
	v_fmac_f32_e32 v53, 0xbf167918, v0
	v_fmac_f32_e32 v41, 0x3f167918, v0
	v_add_f32_e32 v52, v52, v62
	v_mov_b32_e32 v0, v61
	v_mad_u64_u32 v[61:62], s[4:5], s3, v24, v[0:1]
	v_add_f32_e32 v0, v63, v52
	v_add_f32_e32 v0, v0, v17
	v_fmac_f32_e32 v53, 0x3e9e377a, v55
	v_fmac_f32_e32 v41, 0x3e9e377a, v55
	v_add_f32_e32 v55, v0, v43
	v_mov_b32_e32 v0, s11
	v_add_co_u32_e32 v17, vcc, s10, v35
	v_add_u32_e32 v52, 0x271, v24
	v_addc_co_u32_e32 v43, vcc, v0, v36, vcc
	v_mad_u64_u32 v[35:36], s[4:5], s2, v52, 0
	v_lshlrev_b64 v[0:1], 3, v[1:2]
	s_movk_i32 s1, 0xc35
	v_add_co_u32_e32 v62, vcc, v17, v0
	v_mov_b32_e32 v2, v36
	v_addc_co_u32_e32 v43, vcc, v43, v1, vcc
	v_lshlrev_b64 v[0:1], 3, v[60:61]
	v_mad_u64_u32 v[60:61], s[4:5], s3, v52, v[2:3]
	v_add_co_u32_e32 v0, vcc, v62, v0
	v_addc_co_u32_e32 v1, vcc, v43, v1, vcc
	v_mov_b32_e32 v36, v60
	v_add_u32_e32 v17, 0x4e2, v24
	global_store_dwordx2 v[0:1], v[55:56], off
	v_lshlrev_b64 v[0:1], 3, v[35:36]
	v_mad_u64_u32 v[35:36], s[4:5], s2, v17, 0
	v_add_co_u32_e32 v0, vcc, v62, v0
	v_mov_b32_e32 v2, v36
	v_mad_u64_u32 v[55:56], s[4:5], s3, v17, v[2:3]
	v_add_u32_e32 v17, 0x753, v24
	v_mad_u64_u32 v[60:61], s[4:5], s2, v17, 0
	v_addc_co_u32_e32 v1, vcc, v43, v1, vcc
	v_mov_b32_e32 v36, v55
	global_store_dwordx2 v[0:1], v[41:42], off
	v_lshlrev_b64 v[0:1], 3, v[35:36]
	v_mov_b32_e32 v2, v61
	v_add_co_u32_e32 v0, vcc, v62, v0
	v_mad_u64_u32 v[35:36], s[4:5], s3, v17, v[2:3]
	v_addc_co_u32_e32 v1, vcc, v43, v1, vcc
	v_add_u32_e32 v17, 0x9c4, v24
	global_store_dwordx2 v[0:1], v[20:21], off
	v_mad_u64_u32 v[20:21], s[4:5], s2, v17, 0
	v_mov_b32_e32 v61, v35
	v_lshlrev_b64 v[0:1], 3, v[60:61]
	v_mov_b32_e32 v2, v21
	v_mad_u64_u32 v[35:36], s[4:5], s3, v17, v[2:3]
	v_add_u32_e32 v2, 0x7d, v57
	v_mul_hi_u32 v17, v2, s0
	v_add_co_u32_e32 v0, vcc, v62, v0
	v_addc_co_u32_e32 v1, vcc, v43, v1, vcc
	v_mov_b32_e32 v21, v35
	v_lshrrev_b32_e32 v17, 9, v17
	global_store_dwordx2 v[0:1], v[22:23], off
	v_lshlrev_b64 v[0:1], 3, v[20:21]
	v_mul_u32_u24_e32 v20, 0x271, v17
	v_sub_u32_e32 v2, v2, v20
	v_mad_u32_u24 v17, v17, s1, v2
	v_mad_u64_u32 v[20:21], s[4:5], s2, v17, 0
	v_add_u32_e32 v24, 0x271, v17
	v_add_co_u32_e32 v0, vcc, v62, v0
	v_mov_b32_e32 v2, v21
	v_mad_u64_u32 v[21:22], s[4:5], s3, v17, v[2:3]
	v_mad_u64_u32 v[22:23], s[4:5], s2, v24, 0
	v_addc_co_u32_e32 v1, vcc, v43, v1, vcc
	v_mov_b32_e32 v2, v23
	global_store_dwordx2 v[0:1], v[53:54], off
	v_lshlrev_b64 v[0:1], 3, v[20:21]
	v_mad_u64_u32 v[20:21], s[4:5], s3, v24, v[2:3]
	v_add_co_u32_e32 v0, vcc, v62, v0
	v_addc_co_u32_e32 v1, vcc, v43, v1, vcc
	v_mov_b32_e32 v23, v20
	global_store_dwordx2 v[0:1], v[58:59], off
	v_lshlrev_b64 v[0:1], 3, v[22:23]
	v_add_u32_e32 v22, 0x4e2, v17
	v_mad_u64_u32 v[20:21], s[4:5], s2, v22, 0
	v_add_co_u32_e32 v0, vcc, v62, v0
	v_mov_b32_e32 v2, v21
	v_mad_u64_u32 v[21:22], s[4:5], s3, v22, v[2:3]
	v_addc_co_u32_e32 v1, vcc, v43, v1, vcc
	v_add_u32_e32 v24, 0x753, v17
	v_mad_u64_u32 v[22:23], s[4:5], s2, v24, 0
	global_store_dwordx2 v[0:1], v[29:30], off
	v_lshlrev_b64 v[0:1], 3, v[20:21]
	v_add_u32_e32 v17, 0x9c4, v17
	v_add_co_u32_e32 v0, vcc, v62, v0
	v_addc_co_u32_e32 v1, vcc, v43, v1, vcc
	v_mov_b32_e32 v2, v23
	global_store_dwordx2 v[0:1], v[5:6], off
	v_mad_u64_u32 v[5:6], s[4:5], s2, v17, 0
	v_mad_u64_u32 v[20:21], s[4:5], s3, v24, v[2:3]
	v_mov_b32_e32 v2, v6
	v_mov_b32_e32 v23, v20
	v_mad_u64_u32 v[20:21], s[4:5], s3, v17, v[2:3]
	v_add_u32_e32 v2, 0xfa, v57
	v_lshlrev_b64 v[0:1], 3, v[22:23]
	v_mul_hi_u32 v17, v2, s0
	v_add_co_u32_e32 v0, vcc, v62, v0
	v_addc_co_u32_e32 v1, vcc, v43, v1, vcc
	v_mov_b32_e32 v6, v20
	global_store_dwordx2 v[0:1], v[18:19], off
	v_lshlrev_b64 v[0:1], 3, v[5:6]
	v_lshrrev_b32_e32 v5, 9, v17
	v_mul_u32_u24_e32 v6, 0x271, v5
	v_sub_u32_e32 v2, v2, v6
	v_mad_u32_u24 v20, v5, s1, v2
	v_mad_u64_u32 v[5:6], s[4:5], s2, v20, 0
	v_add_u32_e32 v21, 0x271, v20
	v_add_co_u32_e32 v0, vcc, v62, v0
	v_mov_b32_e32 v2, v6
	v_mad_u64_u32 v[17:18], s[4:5], s3, v20, v[2:3]
	v_mad_u64_u32 v[18:19], s[4:5], s2, v21, 0
	v_addc_co_u32_e32 v1, vcc, v43, v1, vcc
	v_mov_b32_e32 v6, v17
	v_mov_b32_e32 v2, v19
	global_store_dwordx2 v[0:1], v[31:32], off
	v_lshlrev_b64 v[0:1], 3, v[5:6]
	v_mad_u64_u32 v[5:6], s[4:5], s3, v21, v[2:3]
	v_add_u32_e32 v17, 0x4e2, v20
	v_add_co_u32_e32 v0, vcc, v62, v0
	v_mov_b32_e32 v19, v5
	v_mad_u64_u32 v[5:6], s[4:5], s2, v17, 0
	v_addc_co_u32_e32 v1, vcc, v43, v1, vcc
	v_mov_b32_e32 v2, v6
	global_store_dwordx2 v[0:1], v[50:51], off
	v_lshlrev_b64 v[0:1], 3, v[18:19]
	v_mad_u64_u32 v[17:18], s[4:5], s3, v17, v[2:3]
	v_add_u32_e32 v21, 0x753, v20
	v_mad_u64_u32 v[18:19], s[4:5], s2, v21, 0
	v_add_co_u32_e32 v0, vcc, v62, v0
	v_addc_co_u32_e32 v1, vcc, v43, v1, vcc
	v_mov_b32_e32 v6, v17
	v_mov_b32_e32 v2, v19
	global_store_dwordx2 v[0:1], v[48:49], off
	v_lshlrev_b64 v[0:1], 3, v[5:6]
	v_mad_u64_u32 v[5:6], s[4:5], s3, v21, v[2:3]
	v_add_u32_e32 v17, 0x9c4, v20
	v_add_co_u32_e32 v0, vcc, v62, v0
	v_mov_b32_e32 v19, v5
	v_mad_u64_u32 v[5:6], s[4:5], s2, v17, 0
	v_addc_co_u32_e32 v1, vcc, v43, v1, vcc
	v_mov_b32_e32 v2, v6
	global_store_dwordx2 v[0:1], v[46:47], off
	v_lshlrev_b64 v[0:1], 3, v[18:19]
	v_mad_u64_u32 v[17:18], s[4:5], s3, v17, v[2:3]
	v_add_u32_e32 v2, 0x177, v57
	v_mul_hi_u32 v18, v2, s0
	v_add_co_u32_e32 v0, vcc, v62, v0
	v_addc_co_u32_e32 v1, vcc, v43, v1, vcc
	v_mov_b32_e32 v6, v17
	global_store_dwordx2 v[0:1], v[44:45], off
	v_lshlrev_b64 v[0:1], 3, v[5:6]
	v_lshrrev_b32_e32 v5, 9, v18
	v_mul_u32_u24_e32 v6, 0x271, v5
	v_sub_u32_e32 v2, v2, v6
	v_mad_u32_u24 v20, v5, s1, v2
	v_mad_u64_u32 v[5:6], s[4:5], s2, v20, 0
	v_add_u32_e32 v21, 0x271, v20
	v_add_co_u32_e32 v0, vcc, v62, v0
	v_mov_b32_e32 v2, v6
	v_mad_u64_u32 v[17:18], s[4:5], s3, v20, v[2:3]
	v_mad_u64_u32 v[18:19], s[4:5], s2, v21, 0
	v_addc_co_u32_e32 v1, vcc, v43, v1, vcc
	v_mov_b32_e32 v6, v17
	v_mov_b32_e32 v2, v19
	global_store_dwordx2 v[0:1], v[7:8], off
	v_lshlrev_b64 v[0:1], 3, v[5:6]
	v_mad_u64_u32 v[5:6], s[4:5], s3, v21, v[2:3]
	v_add_u32_e32 v7, 0x4e2, v20
	v_add_co_u32_e32 v0, vcc, v62, v0
	v_mov_b32_e32 v19, v5
	v_mad_u64_u32 v[5:6], s[4:5], s2, v7, 0
	v_add_u32_e32 v17, 0x753, v20
	v_addc_co_u32_e32 v1, vcc, v43, v1, vcc
	v_mov_b32_e32 v2, v6
	v_mad_u64_u32 v[6:7], s[4:5], s3, v7, v[2:3]
	v_mad_u64_u32 v[7:8], s[4:5], s2, v17, 0
	global_store_dwordx2 v[0:1], v[39:40], off
	v_lshlrev_b64 v[0:1], 3, v[18:19]
	v_mov_b32_e32 v2, v8
	v_add_co_u32_e32 v0, vcc, v62, v0
	v_addc_co_u32_e32 v1, vcc, v43, v1, vcc
	global_store_dwordx2 v[0:1], v[37:38], off
	v_lshlrev_b64 v[0:1], 3, v[5:6]
	v_mad_u64_u32 v[5:6], s[4:5], s3, v17, v[2:3]
	v_add_co_u32_e32 v0, vcc, v62, v0
	v_addc_co_u32_e32 v1, vcc, v43, v1, vcc
	v_mov_b32_e32 v8, v5
	global_store_dwordx2 v[0:1], v[33:34], off
	v_lshlrev_b64 v[0:1], 3, v[7:8]
	v_add_u32_e32 v7, 0x9c4, v20
	v_mad_u64_u32 v[5:6], s[4:5], s2, v7, 0
	v_add_u32_e32 v8, 0x1f4, v57
	v_mul_hi_u32 v17, v8, s0
	v_mov_b32_e32 v2, v6
	v_mad_u64_u32 v[6:7], s[4:5], s3, v7, v[2:3]
	v_lshrrev_b32_e32 v2, 9, v17
	v_mul_u32_u24_e32 v7, 0x271, v2
	v_sub_u32_e32 v7, v8, v7
	v_mad_u32_u24 v17, v2, s1, v7
	v_mad_u64_u32 v[7:8], s[0:1], s2, v17, 0
	v_add_co_u32_e32 v0, vcc, v62, v0
	v_addc_co_u32_e32 v1, vcc, v43, v1, vcc
	v_mov_b32_e32 v2, v8
	global_store_dwordx2 v[0:1], v[25:26], off
	v_lshlrev_b64 v[0:1], 3, v[5:6]
	v_mad_u64_u32 v[5:6], s[0:1], s3, v17, v[2:3]
	v_add_co_u32_e32 v0, vcc, v62, v0
	v_addc_co_u32_e32 v1, vcc, v43, v1, vcc
	v_mov_b32_e32 v8, v5
	global_store_dwordx2 v[0:1], v[27:28], off
	v_lshlrev_b64 v[0:1], 3, v[7:8]
	v_add_u32_e32 v7, 0x271, v17
	v_mad_u64_u32 v[5:6], s[0:1], s2, v7, 0
	v_add_u32_e32 v18, 0x4e2, v17
	v_add_co_u32_e32 v0, vcc, v62, v0
	v_mov_b32_e32 v2, v6
	v_mad_u64_u32 v[6:7], s[0:1], s3, v7, v[2:3]
	v_mad_u64_u32 v[7:8], s[0:1], s2, v18, 0
	v_addc_co_u32_e32 v1, vcc, v43, v1, vcc
	v_mov_b32_e32 v2, v8
	global_store_dwordx2 v[0:1], v[15:16], off
	v_lshlrev_b64 v[0:1], 3, v[5:6]
	v_mad_u64_u32 v[5:6], s[0:1], s3, v18, v[2:3]
	v_add_co_u32_e32 v0, vcc, v62, v0
	v_addc_co_u32_e32 v1, vcc, v43, v1, vcc
	v_mov_b32_e32 v8, v5
	global_store_dwordx2 v[0:1], v[13:14], off
	v_lshlrev_b64 v[0:1], 3, v[7:8]
	v_add_u32_e32 v7, 0x753, v17
	v_mad_u64_u32 v[5:6], s[0:1], s2, v7, 0
	v_add_u32_e32 v13, 0x9c4, v17
	v_add_co_u32_e32 v0, vcc, v62, v0
	v_mov_b32_e32 v2, v6
	v_mad_u64_u32 v[6:7], s[0:1], s3, v7, v[2:3]
	v_mad_u64_u32 v[7:8], s[0:1], s2, v13, 0
	v_addc_co_u32_e32 v1, vcc, v43, v1, vcc
	v_mov_b32_e32 v2, v8
	global_store_dwordx2 v[0:1], v[11:12], off
	v_lshlrev_b64 v[0:1], 3, v[5:6]
	v_mad_u64_u32 v[5:6], s[0:1], s3, v13, v[2:3]
	v_add_co_u32_e32 v0, vcc, v62, v0
	v_addc_co_u32_e32 v1, vcc, v43, v1, vcc
	v_mov_b32_e32 v8, v5
	global_store_dwordx2 v[0:1], v[9:10], off
	v_lshlrev_b64 v[0:1], 3, v[7:8]
	v_add_co_u32_e32 v0, vcc, v62, v0
	v_addc_co_u32_e32 v1, vcc, v43, v1, vcc
	global_store_dwordx2 v[0:1], v[3:4], off
.LBB0_15:
	s_endpgm
	.section	.rodata,"a",@progbits
	.p2align	6, 0x0
	.amdhsa_kernel fft_rtc_fwd_len3125_factors_5_5_5_5_5_wgs_125_tpt_125_halfLds_sp_op_CI_CI_sbrr_dirReg
		.amdhsa_group_segment_fixed_size 0
		.amdhsa_private_segment_fixed_size 0
		.amdhsa_kernarg_size 104
		.amdhsa_user_sgpr_count 6
		.amdhsa_user_sgpr_private_segment_buffer 1
		.amdhsa_user_sgpr_dispatch_ptr 0
		.amdhsa_user_sgpr_queue_ptr 0
		.amdhsa_user_sgpr_kernarg_segment_ptr 1
		.amdhsa_user_sgpr_dispatch_id 0
		.amdhsa_user_sgpr_flat_scratch_init 0
		.amdhsa_user_sgpr_private_segment_size 0
		.amdhsa_uses_dynamic_stack 0
		.amdhsa_system_sgpr_private_segment_wavefront_offset 0
		.amdhsa_system_sgpr_workgroup_id_x 1
		.amdhsa_system_sgpr_workgroup_id_y 0
		.amdhsa_system_sgpr_workgroup_id_z 0
		.amdhsa_system_sgpr_workgroup_info 0
		.amdhsa_system_vgpr_workitem_id 0
		.amdhsa_next_free_vgpr 137
		.amdhsa_next_free_sgpr 32
		.amdhsa_reserve_vcc 1
		.amdhsa_reserve_flat_scratch 0
		.amdhsa_float_round_mode_32 0
		.amdhsa_float_round_mode_16_64 0
		.amdhsa_float_denorm_mode_32 3
		.amdhsa_float_denorm_mode_16_64 3
		.amdhsa_dx10_clamp 1
		.amdhsa_ieee_mode 1
		.amdhsa_fp16_overflow 0
		.amdhsa_exception_fp_ieee_invalid_op 0
		.amdhsa_exception_fp_denorm_src 0
		.amdhsa_exception_fp_ieee_div_zero 0
		.amdhsa_exception_fp_ieee_overflow 0
		.amdhsa_exception_fp_ieee_underflow 0
		.amdhsa_exception_fp_ieee_inexact 0
		.amdhsa_exception_int_div_zero 0
	.end_amdhsa_kernel
	.text
.Lfunc_end0:
	.size	fft_rtc_fwd_len3125_factors_5_5_5_5_5_wgs_125_tpt_125_halfLds_sp_op_CI_CI_sbrr_dirReg, .Lfunc_end0-fft_rtc_fwd_len3125_factors_5_5_5_5_5_wgs_125_tpt_125_halfLds_sp_op_CI_CI_sbrr_dirReg
                                        ; -- End function
	.section	.AMDGPU.csdata,"",@progbits
; Kernel info:
; codeLenInByte = 18624
; NumSgprs: 36
; NumVgprs: 137
; ScratchSize: 0
; MemoryBound: 0
; FloatMode: 240
; IeeeMode: 1
; LDSByteSize: 0 bytes/workgroup (compile time only)
; SGPRBlocks: 4
; VGPRBlocks: 34
; NumSGPRsForWavesPerEU: 36
; NumVGPRsForWavesPerEU: 137
; Occupancy: 1
; WaveLimiterHint : 1
; COMPUTE_PGM_RSRC2:SCRATCH_EN: 0
; COMPUTE_PGM_RSRC2:USER_SGPR: 6
; COMPUTE_PGM_RSRC2:TRAP_HANDLER: 0
; COMPUTE_PGM_RSRC2:TGID_X_EN: 1
; COMPUTE_PGM_RSRC2:TGID_Y_EN: 0
; COMPUTE_PGM_RSRC2:TGID_Z_EN: 0
; COMPUTE_PGM_RSRC2:TIDIG_COMP_CNT: 0
	.type	__hip_cuid_b67f8ddc5fb56b78,@object ; @__hip_cuid_b67f8ddc5fb56b78
	.section	.bss,"aw",@nobits
	.globl	__hip_cuid_b67f8ddc5fb56b78
__hip_cuid_b67f8ddc5fb56b78:
	.byte	0                               ; 0x0
	.size	__hip_cuid_b67f8ddc5fb56b78, 1

	.ident	"AMD clang version 19.0.0git (https://github.com/RadeonOpenCompute/llvm-project roc-6.4.0 25133 c7fe45cf4b819c5991fe208aaa96edf142730f1d)"
	.section	".note.GNU-stack","",@progbits
	.addrsig
	.addrsig_sym __hip_cuid_b67f8ddc5fb56b78
	.amdgpu_metadata
---
amdhsa.kernels:
  - .args:
      - .actual_access:  read_only
        .address_space:  global
        .offset:         0
        .size:           8
        .value_kind:     global_buffer
      - .offset:         8
        .size:           8
        .value_kind:     by_value
      - .actual_access:  read_only
        .address_space:  global
        .offset:         16
        .size:           8
        .value_kind:     global_buffer
      - .actual_access:  read_only
        .address_space:  global
        .offset:         24
        .size:           8
        .value_kind:     global_buffer
      - .actual_access:  read_only
        .address_space:  global
        .offset:         32
        .size:           8
        .value_kind:     global_buffer
      - .offset:         40
        .size:           8
        .value_kind:     by_value
      - .actual_access:  read_only
        .address_space:  global
        .offset:         48
        .size:           8
        .value_kind:     global_buffer
      - .actual_access:  read_only
        .address_space:  global
        .offset:         56
        .size:           8
        .value_kind:     global_buffer
      - .offset:         64
        .size:           4
        .value_kind:     by_value
      - .actual_access:  read_only
        .address_space:  global
        .offset:         72
        .size:           8
        .value_kind:     global_buffer
      - .actual_access:  read_only
        .address_space:  global
        .offset:         80
        .size:           8
        .value_kind:     global_buffer
      - .actual_access:  read_only
        .address_space:  global
        .offset:         88
        .size:           8
        .value_kind:     global_buffer
      - .actual_access:  write_only
        .address_space:  global
        .offset:         96
        .size:           8
        .value_kind:     global_buffer
    .group_segment_fixed_size: 0
    .kernarg_segment_align: 8
    .kernarg_segment_size: 104
    .language:       OpenCL C
    .language_version:
      - 2
      - 0
    .max_flat_workgroup_size: 125
    .name:           fft_rtc_fwd_len3125_factors_5_5_5_5_5_wgs_125_tpt_125_halfLds_sp_op_CI_CI_sbrr_dirReg
    .private_segment_fixed_size: 0
    .sgpr_count:     36
    .sgpr_spill_count: 0
    .symbol:         fft_rtc_fwd_len3125_factors_5_5_5_5_5_wgs_125_tpt_125_halfLds_sp_op_CI_CI_sbrr_dirReg.kd
    .uniform_work_group_size: 1
    .uses_dynamic_stack: false
    .vgpr_count:     137
    .vgpr_spill_count: 0
    .wavefront_size: 64
amdhsa.target:   amdgcn-amd-amdhsa--gfx906
amdhsa.version:
  - 1
  - 2
...

	.end_amdgpu_metadata
